;; amdgpu-corpus repo=ROCm/aiter kind=harvested arch=n/a opt=n/a

/root/src/amdgpu-assembly/repos/ROCm__aiter/hsa/gfx950/fmoe/gelu/fmoe_bf16_pertokenInt8_g1u0_vs_gelu_1tg_ps_32x192.co:	file format elf64-amdgpu

Disassembly of section .text:

0000000000002e00 <_ZN5aiter49fmoe_bf16_pertokenInt8_g1u0_vs_gelu_1tg_ps_32x192E>:
	v_lshrrev_b32_e32 v1, 10, v0                               // 000000002E00: 2002008A
	v_lshrrev_b32_e32 v2, 10, v1                               // 000000002E04: 2004028A
	v_and_b32_e32 v2, 0x3ff, v2                                // 000000002E08: 260404FF 000003FF
	v_and_b32_e32 v1, 0x3ff, v1                                // 000000002E10: 260202FF 000003FF
	v_and_b32_e32 v0, 0x3ff, v0                                // 000000002E18: 260000FF 000003FF
	v_lshrrev_b32_e32 v3, 6, v0                                // 000000002E20: 20060086
	v_and_b32_e32 v0, 63, v0                                   // 000000002E24: 260000BF
	s_mov_b32 s2, s2                                           // 000000002E28: BE820002
	s_mov_b32 s3, s3                                           // 000000002E2C: BE830003
	s_mov_b32 s4, s4                                           // 000000002E30: BE840004
	s_mov_b32 s99, s2                                          // 000000002E34: BEE30002
	v_readfirstlane_b32 s7, v3                                 // 000000002E38: 7E0E0503
	s_and_b32 s1, s1, 0xffff                                   // 000000002E3C: 8601FF01 0000FFFF
	s_mov_b32 s96, 0                                           // 000000002E44: BEE00080
	s_mov_b32 s97, 0                                           // 000000002E48: BEE10080
	s_mov_b32 s100, 0                                          // 000000002E4C: BEE40080
	s_load_dword s96, s[0:1], 0x1a0                            // 000000002E50: C0021800 000001A0
	s_load_dword s97, s[0:1], 0x1b0                            // 000000002E58: C0021840 000001B0
	s_waitcnt lgkmcnt(0)                                       // 000000002E60: BF8CC07F
	s_cmp_eq_u32 s96, 0                                        // 000000002E64: BF068060
	s_cbranch_scc1 label_005C                                  // 000000002E68: BF850041
	v_cvt_f32_u32_e32 v44, s97                                 // 000000002E6C: 7E580C61
	s_sub_i32 s60, 0, s97                                      // 000000002E70: 81BC6180
	v_rcp_iflag_f32_e32 v44, v44                               // 000000002E74: 7E58472C
	s_nop 0                                                    // 000000002E78: BF800000
	v_mul_f32_e32 v44, 0x4f7ffffe, v44                         // 000000002E7C: 0A5858FF 4F7FFFFE
	v_cvt_u32_f32_e32 v44, v44                                 // 000000002E84: 7E580F2C
	v_mul_lo_u32 v45, s60, v44                                 // 000000002E88: D285002D 0002583C
	v_mul_hi_u32 v45, v44, v45                                 // 000000002E90: D286002D 00025B2C
	v_add_u32_e32 v44, v44, v45                                // 000000002E98: 68585B2C
	v_mul_hi_u32 v44, s96, v44                                 // 000000002E9C: D286002C 00025860
	v_mul_lo_u32 v45, v44, s97                                 // 000000002EA4: D285002D 0000C32C
	v_sub_u32_e32 v47, s96, v45                                // 000000002EAC: 6A5E5A60
	v_add_u32_e32 v46, 1, v44                                  // 000000002EB0: 685C5881
	v_cmp_le_u32_e32 vcc, s97, v47                             // 000000002EB4: 7D965E61
	v_subrev_u32_e32 v45, s97, v47                             // 000000002EB8: 6C5A5E61
	s_nop 0                                                    // 000000002EBC: BF800000
	v_cndmask_b32_e32 v44, v44, v46, vcc                       // 000000002EC0: 00585D2C
	v_cndmask_b32_e32 v47, v47, v45, vcc                       // 000000002EC4: 005E5B2F
	v_add_u32_e32 v45, 1, v44                                  // 000000002EC8: 685A5881
	v_cmp_le_u32_e32 vcc, s97, v47                             // 000000002ECC: 7D965E61
	s_nop 1                                                    // 000000002ED0: BF800001
	v_cndmask_b32_e32 v47, v44, v45, vcc                       // 000000002ED4: 005E5B2C
	s_nop 3                                                    // 000000002ED8: BF800003
	v_readfirstlane_b32 s98, v47                               // 000000002EDC: 7EC4052F
	s_nop 3                                                    // 000000002EE0: BF800003

0000000000002ee4 <label_0039>:
	s_mov_b32 s4, 0                                            // 000000002EE4: BE840080
	v_cvt_f32_u32_e32 v44, s97                                 // 000000002EE8: 7E580C61
	s_sub_i32 s60, 0, s97                                      // 000000002EEC: 81BC6180
	v_rcp_iflag_f32_e32 v44, v44                               // 000000002EF0: 7E58472C
	s_nop 0                                                    // 000000002EF4: BF800000
	v_mul_f32_e32 v44, 0x4f7ffffe, v44                         // 000000002EF8: 0A5858FF 4F7FFFFE
	v_cvt_u32_f32_e32 v44, v44                                 // 000000002F00: 7E580F2C
	v_mul_lo_u32 v45, s60, v44                                 // 000000002F04: D285002D 0002583C
	v_mul_hi_u32 v45, v44, v45                                 // 000000002F0C: D286002D 00025B2C
	v_add_u32_e32 v44, v44, v45                                // 000000002F14: 68585B2C
	v_mul_hi_u32 v44, s99, v44                                 // 000000002F18: D286002C 00025863
	v_mul_lo_u32 v45, v44, s97                                 // 000000002F20: D285002D 0000C32C
	v_sub_u32_e32 v47, s99, v45                                // 000000002F28: 6A5E5A63
	v_add_u32_e32 v46, 1, v44                                  // 000000002F2C: 685C5881
	v_cmp_le_u32_e32 vcc, s97, v47                             // 000000002F30: 7D965E61
	v_subrev_u32_e32 v45, s97, v47                             // 000000002F34: 6C5A5E61
	s_nop 0                                                    // 000000002F38: BF800000
	v_cndmask_b32_e32 v44, v44, v46, vcc                       // 000000002F3C: 00585D2C
	v_cndmask_b32_e32 v47, v47, v45, vcc                       // 000000002F40: 005E5B2F
	v_add_u32_e32 v45, 1, v44                                  // 000000002F44: 685A5881
	v_cmp_le_u32_e32 vcc, s97, v47                             // 000000002F48: 7D965E61
	s_nop 1                                                    // 000000002F4C: BF800001
	v_cndmask_b32_e32 v47, v44, v45, vcc                       // 000000002F50: 005E5B2C
	s_nop 3                                                    // 000000002F54: BF800003
	v_readfirstlane_b32 s3, v47                                // 000000002F58: 7E06052F
	s_nop 3                                                    // 000000002F5C: BF800003
	s_mul_i32 s60, s3, s97                                     // 000000002F60: 923C6103
	s_sub_u32 s2, s99, s60                                     // 000000002F64: 80823C63
	s_mul_i32 s60, s98, s100                                   // 000000002F68: 923C6462
	s_add_i32 s3, s3, s60                                      // 000000002F6C: 81033C03

0000000000002f70 <label_005C>:
	s_and_b32 s1, s1, 0xffff                                   // 000000002F70: 8601FF01 0000FFFF
	s_load_dwordx2 s[8:9], s[0:1], 0x0                         // 000000002F78: C0060200 00000000
	s_load_dwordx2 s[20:21], s[0:1], 0x10                      // 000000002F80: C0060500 00000010
	s_load_dwordx2 s[24:25], s[0:1], 0x20                      // 000000002F88: C0060600 00000020
	s_load_dwordx2 s[50:51], s[0:1], 0x30                      // 000000002F90: C0060C80 00000030
	s_load_dwordx2 s[12:13], s[0:1], 0x40                      // 000000002F98: C0060300 00000040
	s_load_dwordx2 s[28:29], s[0:1], 0x50                      // 000000002FA0: C0060700 00000050
	s_load_dwordx2 s[32:33], s[0:1], 0x60                      // 000000002FA8: C0060800 00000060
	s_load_dwordx2 s[16:17], s[0:1], 0x70                      // 000000002FB0: C0060400 00000070
	s_load_dwordx2 s[36:37], s[0:1], 0x80                      // 000000002FB8: C0060900 00000080
	s_load_dwordx2 s[44:45], s[0:1], 0x90                      // 000000002FC0: C0060B00 00000090
	s_load_dwordx2 s[40:41], s[0:1], 0xa0                      // 000000002FC8: C0060A00 000000A0
	s_load_dwordx2 s[46:47], s[0:1], 0xb0                      // 000000002FD0: C0060B80 000000B0
	s_load_dword s64, s[0:1], 0xc0                             // 000000002FD8: C0021000 000000C0
	s_load_dword s65, s[0:1], 0xd0                             // 000000002FE0: C0021040 000000D0
	s_load_dword s67, s[0:1], 0xf0                             // 000000002FE8: C00210C0 000000F0
	s_load_dword s68, s[0:1], 0x100                            // 000000002FF0: C0021100 00000100
	s_load_dword s69, s[0:1], 0x110                            // 000000002FF8: C0021140 00000110
	s_load_dword s70, s[0:1], 0x120                            // 000000003000: C0021180 00000120
	s_load_dword s71, s[0:1], 0x130                            // 000000003008: C00211C0 00000130
	s_load_dword s72, s[0:1], 0x140                            // 000000003010: C0021200 00000140
	s_load_dword s73, s[0:1], 0x150                            // 000000003018: C0021240 00000150
	s_load_dword s74, s[0:1], 0x160                            // 000000003020: C0021280 00000160
	s_load_dword s75, s[0:1], 0x170                            // 000000003028: C00212C0 00000170
	s_load_dword s76, s[0:1], 0x180                            // 000000003030: C0021300 00000180
	s_load_dword s63, s[0:1], 0x190                            // 000000003038: C0020FC0 00000190
	s_mov_b32 s2, s2                                           // 000000003040: BE820002
	s_mov_b32 s3, s3                                           // 000000003044: BE830003
	s_mov_b32 s4, s4                                           // 000000003048: BE840004
	s_waitcnt lgkmcnt(0)                                       // 00000000304C: BF8CC07F
	s_and_b32 s51, s51, 0xffff                                 // 000000003050: 8633FF33 0000FFFF
	s_load_dword s66, s[50:51], 0x4                            // 000000003058: C0021099 00000004
	s_load_dword s50, s[50:51], 0x0                            // 000000003060: C0020C99 00000000
	s_waitcnt lgkmcnt(0)                                       // 000000003068: BF8CC07F
	s_and_b32 s45, s45, 0xffff                                 // 00000000306C: 862DFF2D 0000FFFF
	s_and_b32 s47, s47, 0xffff                                 // 000000003074: 862FFF2F 0000FFFF
	s_and_b32 s9, s9, 0xffff                                   // 00000000307C: 8609FF09 0000FFFF
	s_mul_i32 s60, s66, s68                                    // 000000003084: 923C4442
	s_mul_i32 s60, s63, s60                                    // 000000003088: 923C3C3F
	s_mul_i32 s61, s66, 4                                      // 00000000308C: 923D8442
	s_mul_i32 s61, s63, s61                                    // 000000003090: 923D3D3F
	s_mov_b32 s22, s60                                         // 000000003094: BE96003C
	s_mov_b32 s26, -16                                         // 000000003098: BE9A00D0
	s_mov_b32 s14, -16                                         // 00000000309C: BE8E00D0
	s_mov_b32 s42, -16                                         // 0000000030A0: BEAA00D0
	s_mov_b32 s30, s61                                         // 0000000030A4: BE9E003D
	s_mov_b32 s34, 0x300                                       // 0000000030A8: BEA200FF 00000300
	s_mov_b32 s38, 0x300                                       // 0000000030B0: BEA600FF 00000300
	s_mov_b32 s18, -16                                         // 0000000030B8: BE9200D0
	s_mov_b32 s23, 0x20000                                     // 0000000030BC: BE9700FF 00020000
	s_mov_b32 s27, 0x20000                                     // 0000000030C4: BE9B00FF 00020000
	s_mov_b32 s15, 0x20000                                     // 0000000030CC: BE8F00FF 00020000
	s_mov_b32 s43, 0x20000                                     // 0000000030D4: BEAB00FF 00020000
	s_mov_b32 s31, 0x20000                                     // 0000000030DC: BE9F00FF 00020000
	s_mov_b32 s35, 0x20000                                     // 0000000030E4: BEA300FF 00020000
	s_mov_b32 s39, 0x20000                                     // 0000000030EC: BEA700FF 00020000
	s_mov_b32 s19, 0x20000                                     // 0000000030F4: BE9300FF 00020000
	s_and_b32 s21, s21, 0xffff                                 // 0000000030FC: 8615FF15 0000FFFF
	s_and_b32 s25, s25, 0xffff                                 // 000000003104: 8619FF19 0000FFFF
	s_and_b32 s13, s13, 0xffff                                 // 00000000310C: 860DFF0D 0000FFFF
	s_and_b32 s41, s41, 0xffff                                 // 000000003114: 8629FF29 0000FFFF
	s_and_b32 s29, s29, 0xffff                                 // 00000000311C: 861DFF1D 0000FFFF
	s_and_b32 s33, s33, 0xffff                                 // 000000003124: 8621FF21 0000FFFF
	s_and_b32 s37, s37, 0xffff                                 // 00000000312C: 8625FF25 0000FFFF
	s_and_b32 s17, s17, 0xffff                                 // 000000003134: 8611FF11 0000FFFF
	s_or_b32 s21, s21, 0x40000                                 // 00000000313C: 8715FF15 00040000
	s_or_b32 s25, s25, 0x40000                                 // 000000003144: 8719FF19 00040000
	s_or_b32 s13, s13, 0x40000                                 // 00000000314C: 870DFF0D 00040000
	s_or_b32 s41, s41, 0x40000                                 // 000000003154: 8729FF29 00040000
	s_or_b32 s29, s29, 0x40000                                 // 00000000315C: 871DFF1D 00040000
	s_or_b32 s33, s33, 0x40000                                 // 000000003164: 8721FF21 00040000
	s_or_b32 s37, s37, 0x40000                                 // 00000000316C: 8725FF25 00040000
	s_or_b32 s17, s17, 0x40000                                 // 000000003174: 8711FF11 00040000
	v_accvgpr_write_b32 a95, 0                                 // 00000000317C: D3D9405F 18000080
	v_mov_b32_e32 v215, 0                                      // 000000003184: 7FAE0280
	s_waitcnt lgkmcnt(0)                                       // 000000003188: BF8CC07F
	s_mul_i32 s60, s3, 32                                      // 00000000318C: 923CA003
	s_cmp_lt_i32 s60, s50                                      // 000000003190: BF04323C
	s_cbranch_scc0 label_153C                                  // 000000003194: BF841456
	s_mov_b32 s80, 0                                           // 000000003198: BED00080
	s_mov_b32 s81, s64                                         // 00000000319C: BED10040
	s_mul_i32 s60, s3, 4                                       // 0000000031A0: 923C8403
	s_add_u32 s46, s60, s46                                    // 0000000031A4: 802E2E3C
	s_addc_u32 s47, 0, s47                                     // 0000000031A8: 822F2F80
	s_load_dword s5, s[46:47], 0x0                             // 0000000031AC: C0020157 00000000
	s_mul_i32 s60, s3, 32                                      // 0000000031B4: 923CA003
	s_mul_i32 s60, 4, s60                                      // 0000000031B8: 923C3C84
	v_and_b32_e32 v44, 15, v0                                  // 0000000031BC: 2658008F
	v_lshlrev_b32_e32 v44, 2, v44                              // 0000000031C0: 24585882
	v_add_u32_e32 v44, s60, v44                                // 0000000031C4: 6858583C
	v_mov_b32_e32 v45, 0                                       // 0000000031C8: 7E5A0280
	global_load_dword v6, v44, s[44:45]                        // 0000000031CC: DC508000 062C002C
	v_add_u32_e32 v44, 64, v44                                 // 0000000031D4: 685858C0
	global_load_dword v7, v44, s[44:45]                        // 0000000031D8: DC508000 072C002C
	s_mul_i32 s60, s3, 32                                      // 0000000031E0: 923CA003
	s_add_u32 s60, s7, s60                                     // 0000000031E4: 803C3C07
	s_mul_i32 s60, 4, s60                                      // 0000000031E8: 923C3C84
	s_add_u32 s44, s60, s44                                    // 0000000031EC: 802C2C3C
	s_addc_u32 s45, 0, s45                                     // 0000000031F0: 822D2D80
	s_load_dword s82, s[44:45], 0x0                            // 0000000031F4: C0021496 00000000
	s_load_dword s83, s[44:45], 0x10                           // 0000000031FC: C00214D6 00000010
	s_load_dword s84, s[44:45], 0x20                           // 000000003204: C0021516 00000020
	s_load_dword s85, s[44:45], 0x30                           // 00000000320C: C0021556 00000030
	s_load_dword s86, s[44:45], 0x40                           // 000000003214: C0021596 00000040
	s_load_dword s87, s[44:45], 0x50                           // 00000000321C: C00215D6 00000050
	s_load_dword s88, s[44:45], 0x60                           // 000000003224: C0021616 00000060
	s_load_dword s89, s[44:45], 0x70                           // 00000000322C: C0021656 00000070
	s_waitcnt lgkmcnt(0)                                       // 000000003234: BF8CC07F
	v_lshlrev_b32_e32 v44, 2, v0                               // 000000003238: 24580082
	s_lshr_b32 s61, s82, 24                                    // 00000000323C: 8F3D9852
	s_mul_i32 s61, s61, s68                                    // 000000003240: 923D443D
	s_mul_i32 s61, s61, s66                                    // 000000003244: 923D423D
	s_and_b32 s82, s82, 0xffffff                               // 000000003248: 8652FF52 00FFFFFF
	s_mul_i32 s60, s82, s68                                    // 000000003250: 923C4452
	s_add_u32 s60, s61, s60                                    // 000000003254: 803C3C3D
	v_add_u32_e64 v24, v44, s60                                // 000000003258: D1340018 0000792C
	s_lshr_b32 s61, s83, 24                                    // 000000003260: 8F3D9853
	s_mul_i32 s61, s61, s68                                    // 000000003264: 923D443D
	s_mul_i32 s61, s61, s66                                    // 000000003268: 923D423D
	s_and_b32 s83, s83, 0xffffff                               // 00000000326C: 8653FF53 00FFFFFF
	s_mul_i32 s60, s83, s68                                    // 000000003274: 923C4453
	s_add_u32 s60, s61, s60                                    // 000000003278: 803C3C3D
	v_add_u32_e64 v25, v44, s60                                // 00000000327C: D1340019 0000792C
	s_lshr_b32 s61, s84, 24                                    // 000000003284: 8F3D9854
	s_mul_i32 s61, s61, s68                                    // 000000003288: 923D443D
	s_mul_i32 s61, s61, s66                                    // 00000000328C: 923D423D
	s_and_b32 s84, s84, 0xffffff                               // 000000003290: 8654FF54 00FFFFFF
	s_mul_i32 s60, s84, s68                                    // 000000003298: 923C4454
	s_add_u32 s60, s61, s60                                    // 00000000329C: 803C3C3D
	v_add_u32_e64 v26, v44, s60                                // 0000000032A0: D134001A 0000792C
	s_lshr_b32 s61, s85, 24                                    // 0000000032A8: 8F3D9855
	s_mul_i32 s61, s61, s68                                    // 0000000032AC: 923D443D
	s_mul_i32 s61, s61, s66                                    // 0000000032B0: 923D423D
	s_and_b32 s85, s85, 0xffffff                               // 0000000032B4: 8655FF55 00FFFFFF
	s_mul_i32 s60, s85, s68                                    // 0000000032BC: 923C4455
	s_add_u32 s60, s61, s60                                    // 0000000032C0: 803C3C3D
	v_add_u32_e64 v27, v44, s60                                // 0000000032C4: D134001B 0000792C
	s_lshr_b32 s61, s86, 24                                    // 0000000032CC: 8F3D9856
	s_mul_i32 s61, s61, s68                                    // 0000000032D0: 923D443D
	s_mul_i32 s61, s61, s66                                    // 0000000032D4: 923D423D
	s_and_b32 s86, s86, 0xffffff                               // 0000000032D8: 8656FF56 00FFFFFF
	s_mul_i32 s60, s86, s68                                    // 0000000032E0: 923C4456
	s_add_u32 s60, s61, s60                                    // 0000000032E4: 803C3C3D
	v_add_u32_e64 v28, v44, s60                                // 0000000032E8: D134001C 0000792C
	s_lshr_b32 s61, s87, 24                                    // 0000000032F0: 8F3D9857
	s_mul_i32 s61, s61, s68                                    // 0000000032F4: 923D443D
	s_mul_i32 s61, s61, s66                                    // 0000000032F8: 923D423D
	s_and_b32 s87, s87, 0xffffff                               // 0000000032FC: 8657FF57 00FFFFFF
	s_mul_i32 s60, s87, s68                                    // 000000003304: 923C4457
	s_add_u32 s60, s61, s60                                    // 000000003308: 803C3C3D
	v_add_u32_e64 v29, v44, s60                                // 00000000330C: D134001D 0000792C
	s_lshr_b32 s61, s88, 24                                    // 000000003314: 8F3D9858
	s_mul_i32 s61, s61, s68                                    // 000000003318: 923D443D
	s_mul_i32 s61, s61, s66                                    // 00000000331C: 923D423D
	s_and_b32 s88, s88, 0xffffff                               // 000000003320: 8658FF58 00FFFFFF
	s_mul_i32 s60, s88, s68                                    // 000000003328: 923C4458
	s_add_u32 s60, s61, s60                                    // 00000000332C: 803C3C3D
	v_add_u32_e64 v30, v44, s60                                // 000000003330: D134001E 0000792C
	s_lshr_b32 s61, s89, 24                                    // 000000003338: 8F3D9859
	s_mul_i32 s61, s61, s68                                    // 00000000333C: 923D443D
	s_mul_i32 s61, s61, s66                                    // 000000003340: 923D423D
	s_and_b32 s89, s89, 0xffffff                               // 000000003344: 8659FF59 00FFFFFF
	s_mul_i32 s60, s89, s68                                    // 00000000334C: 923C4459
	s_add_u32 s60, s61, s60                                    // 000000003350: 803C3C3D
	v_add_u32_e64 v31, v44, s60                                // 000000003354: D134001F 0000792C
	v_lshlrev_b32_e32 v44, 2, v0                               // 00000000335C: 24580082
	s_mul_i32 s60, s82, s71                                    // 000000003360: 923C4752
	v_add_u32_e64 v80, v44, s60                                // 000000003364: D1340050 0000792C
	v_mov_b32_e32 v81, 0                                       // 00000000336C: 7EA20280
	s_mul_i32 s60, s83, s71                                    // 000000003370: 923C4753
	v_add_u32_e64 v82, v44, s60                                // 000000003374: D1340052 0000792C
	v_mov_b32_e32 v83, 0                                       // 00000000337C: 7EA60280
	s_mul_i32 s60, s84, s71                                    // 000000003380: 923C4754
	v_add_u32_e64 v84, v44, s60                                // 000000003384: D1340054 0000792C
	v_mov_b32_e32 v85, 0                                       // 00000000338C: 7EAA0280
	s_mul_i32 s60, s85, s71                                    // 000000003390: 923C4755
	v_add_u32_e64 v86, v44, s60                                // 000000003394: D1340056 0000792C
	v_mov_b32_e32 v87, 0                                       // 00000000339C: 7EAE0280
	s_mul_i32 s60, s86, s71                                    // 0000000033A0: 923C4756
	v_add_u32_e64 v88, v44, s60                                // 0000000033A4: D1340058 0000792C
	v_mov_b32_e32 v89, 0                                       // 0000000033AC: 7EB20280
	s_mul_i32 s60, s87, s71                                    // 0000000033B0: 923C4757
	v_add_u32_e64 v90, v44, s60                                // 0000000033B4: D134005A 0000792C
	v_mov_b32_e32 v91, 0                                       // 0000000033BC: 7EB60280
	s_mul_i32 s60, s88, s71                                    // 0000000033C0: 923C4758
	v_add_u32_e64 v92, v44, s60                                // 0000000033C4: D134005C 0000792C
	v_mov_b32_e32 v93, 0                                       // 0000000033CC: 7EBA0280
	s_mul_i32 s60, s89, s71                                    // 0000000033D0: 923C4759
	v_add_u32_e64 v94, v44, s60                                // 0000000033D4: D134005E 0000792C
	v_mov_b32_e32 v95, 0                                       // 0000000033DC: 7EBE0280
	s_mul_i32 s60, s7, 0x820                                   // 0000000033E0: 923CFF07 00000820
	s_add_u32 s50, 0, s60                                      // 0000000033E8: 80323C80
	s_add_u32 s51, 0x2080, s50                                 // 0000000033EC: 803332FF 00002080
	v_lshrrev_b32_e32 v44, 4, v0                               // 0000000033F4: 20580084
	v_lshlrev_b32_e32 v45, 2, v44                              // 0000000033F8: 245A5882
	v_and_b32_e32 v44, 15, v0                                  // 0000000033FC: 2658008F
	v_lshrrev_b32_e32 v46, 2, v44                              // 000000003400: 205C5882
	v_lshlrev_b32_e32 v46, 6, v46                              // 000000003404: 245C5C86
	v_add_u32_e32 v45, v46, v45                                // 000000003408: 685A5B2E
	v_and_b32_e32 v44, 3, v0                                   // 00000000340C: 26580083
	v_mul_i32_i24_e32 v46, 0x208, v44                          // 000000003410: 0C5C58FF 00000208
	v_add_u32_e32 v45, v46, v45                                // 000000003418: 685A5B2E
	v_lshlrev_b32_e32 v2, 2, v45                               // 00000000341C: 24045A82
	s_mul_i32 s60, s2, 0xc0                                    // 000000003420: 923CFF02 000000C0
	s_mul_i32 s60, s60, s69                                    // 000000003428: 923C453C
	s_mul_i32 s61, s5, s72                                     // 00000000342C: 923D4805
	s_add_u32 s60, s61, s60                                    // 000000003430: 803C3C3D
	s_add_u32 s24, s60, s24                                    // 000000003434: 8018183C
	s_addc_u32 s25, 0, s25                                     // 000000003438: 82191980
	s_mul_i32 s60, s7, 16                                      // 00000000343C: 923C9007
	s_mul_i32 s60, s60, s69                                    // 000000003440: 923C453C
	v_lshlrev_b32_e32 v32, 4, v0                               // 000000003444: 24400084
	v_add_u32_e32 v32, s60, v32                                // 000000003448: 6840403C
	s_mul_i32 s60, 64, s69                                     // 00000000344C: 923C45C0
	v_add_u32_e32 v33, s60, v32                                // 000000003450: 6842403C
	v_add_u32_e32 v34, s60, v33                                // 000000003454: 6844423C
	s_mul_i32 s60, s2, 0xc00                                   // 000000003458: 923CFF02 00000C00
	s_mul_i32 s61, s5, s73                                     // 000000003460: 923D4905
	s_add_u32 s60, s61, s60                                    // 000000003464: 803C3C3D
	s_add_u32 s12, s60, s12                                    // 000000003468: 800C0C3C
	s_addc_u32 s13, 0, s13                                     // 00000000346C: 820D0D80
	s_mul_i32 s60, s7, 16                                      // 000000003470: 923C9007
	s_mul_i32 s60, s60, s70                                    // 000000003474: 923C463C
	v_lshlrev_b32_e32 v35, 4, v0                               // 000000003478: 24460084
	v_add_u32_e32 v35, s60, v35                                // 00000000347C: 6846463C
	s_mul_i32 s60, 64, s70                                     // 000000003480: 923C46C0
	v_add_u32_e32 v36, s60, v35                                // 000000003484: 6848463C
	v_add_u32_e32 v37, s60, v36                                // 000000003488: 684A483C
	v_add_u32_e32 v38, s60, v37                                // 00000000348C: 684C4A3C
	s_mul_i32 s60, s3, 32                                      // 000000003490: 923CA003
	s_mul_i32 s60, 4, s60                                      // 000000003494: 923C3C84
	s_add_u32 s40, s60, s40                                    // 000000003498: 8028283C
	s_addc_u32 s41, 0, s41                                     // 00000000349C: 82292980
	v_and_b32_e32 v44, 15, v0                                  // 0000000034A0: 2658008F
	v_lshlrev_b32_e32 v8, 2, v44                               // 0000000034A4: 24105882
	v_add_u32_e32 v9, 64, v8                                   // 0000000034A8: 681210C0
	v_lshrrev_b32_e32 v44, 4, v0                               // 0000000034AC: 20580084
	v_lshlrev_b32_e32 v45, 2, v44                              // 0000000034B0: 245A5882
	v_and_b32_e32 v44, 15, v0                                  // 0000000034B4: 2658008F
	v_lshrrev_b32_e32 v46, 2, v44                              // 0000000034B8: 205C5882
	v_lshlrev_b32_e32 v46, 6, v46                              // 0000000034BC: 245C5C86
	v_add_u32_e32 v45, v46, v45                                // 0000000034C0: 685A5B2E
	v_and_b32_e32 v44, 3, v0                                   // 0000000034C4: 26580083
	v_add_u32_e32 v45, v44, v45                                // 0000000034C8: 685A5B2C
	v_lshlrev_b32_e32 v10, 2, v45                              // 0000000034CC: 24145A82
	v_add_u32_e32 v11, 0x400, v10                              // 0000000034D0: 681614FF 00000400
	s_mul_i32 s60, s7, 16                                      // 0000000034D8: 923C9007
	s_mul_i32 s60, s60, 4                                      // 0000000034DC: 923C843C
	v_add_u32_e32 v10, s60, v10                                // 0000000034E0: 6814143C
	v_add_u32_e32 v11, s60, v11                                // 0000000034E4: 6816163C
	v_mov_b32_e32 v5, v10                                      // 0000000034E8: 7E0A030A
	s_mul_i32 s60, s2, 0xc0                                    // 0000000034EC: 923CFF02 000000C0
	s_mul_i32 s60, s60, 4                                      // 0000000034F4: 923C843C
	s_mul_i32 s61, s5, s74                                     // 0000000034F8: 923D4A05
	s_add_u32 s61, s61, s60                                    // 0000000034FC: 803D3C3D
	s_mul_i32 s62, s5, s76                                     // 000000003500: 923E4C05
	s_add_u32 s62, s62, s60                                    // 000000003504: 803E3C3E
	s_add_u32 s32, s61, s32                                    // 000000003508: 8020203D
	s_addc_u32 s33, 0, s33                                     // 00000000350C: 82212180
	s_add_u32 s36, s62, s36                                    // 000000003510: 8024243E
	s_addc_u32 s37, 0, s37                                     // 000000003514: 82252580
	s_mul_i32 s60, s5, s75                                     // 000000003518: 923C4B05
	s_add_u32 s16, s60, s16                                    // 00000000351C: 8010103C
	s_addc_u32 s17, 0, s17                                     // 000000003520: 82111180
	s_mov_b32 s57, 0x100                                       // 000000003524: BEB900FF 00000100
	s_mov_b32 s58, 0x1000                                      // 00000000352C: BEBA00FF 00001000
	s_mov_b32 s79, 0x400                                       // 000000003534: BECF00FF 00000400
	s_mov_b32 s59, 0x200                                       // 00000000353C: BEBB00FF 00000200
	s_mul_i32 s60, s70, 0x100                                  // 000000003544: 923CFF46 00000100
	s_mov_b32 s78, 0x400                                       // 00000000354C: BECE00FF 00000400
	s_mul_i32 s61, s78, 2                                      // 000000003554: 923D824E
	s_sub_u32 s56, s60, s61                                    // 000000003558: 80B83D3C
	s_mov_b32 s52, 0x7060302                                   // 00000000355C: BEB400FF 07060302
	s_mov_b32 s53, 0x400                                       // 000000003564: BEB500FF 00000400
	s_mov_b32 s54, 0x40100                                     // 00000000356C: BEB600FF 00040100
	s_mov_b32 s55, 0x4020100                                   // 000000003574: BEB700FF 04020100
	s_mov_b32 s6, 0x3fb8aa3b                                   // 00000000357C: BE8600FF 3FB8AA3B
	s_mov_b32 s77, 0xbd92220c                                  // 000000003584: BECD00FF BD92220C
	s_mov_b32 m0, s50                                          // 00000000358C: BEFC0032
	v_mov_b32_e32 v1, 0xbfcc4231                               // 000000003590: 7E0202FF BFCC4231
	v_mov_b32_e32 v40, 0xffff0000                              // 000000003598: 7E5002FF FFFF0000
	v_mov_b32_e32 v41, 0x7fff0000                              // 0000000035A0: 7E5202FF 7FFF0000
	v_mov_b32_e32 v42, 0x7fff                                  // 0000000035A8: 7E5402FF 00007FFF
	s_waitcnt vmcnt(0) expcnt(0) lgkmcnt(0)                    // 0000000035B0: BF8C0000
	v_lshrrev_b32_e32 v44, 24, v6                              // 0000000035B4: 20580C98
	v_mul_i32_i24_e32 v44, s66, v44                            // 0000000035B8: 0C585842
	v_and_b32_e32 v45, 0xffffff, v6                            // 0000000035BC: 265A0CFF 00FFFFFF
	v_add_u32_e32 v6, v44, v45                                 // 0000000035C4: 680C5B2C
	v_lshrrev_b32_e32 v44, 24, v7                              // 0000000035C8: 20580E98
	v_mul_i32_i24_e32 v44, s66, v44                            // 0000000035CC: 0C585842
	v_and_b32_e32 v45, 0xffffff, v7                            // 0000000035D0: 265A0EFF 00FFFFFF
	v_add_u32_e32 v7, v44, v45                                 // 0000000035D8: 680E5B2C
	v_lshlrev_b32_e32 v6, 2, v6                                // 0000000035DC: 240C0C82
	v_lshlrev_b32_e32 v7, 2, v7                                // 0000000035E0: 240E0E82
	buffer_load_dword v13, v6, s[28:31], 0 offen               // 0000000035E4: E0501000 80070D06
	buffer_load_dword v14, v7, s[28:31], 0 offen               // 0000000035EC: E0501000 80070E07
	buffer_load_dword v15, v10, s[32:35], 0 offen              // 0000000035F4: E0501000 80080F0A
	buffer_load_dword v16, v11, s[32:35], 0 offen              // 0000000035FC: E0501000 8008100B
	buffer_load_dword v16, v10, s[36:39], 0 offen              // 000000003604: E0501000 8009100A
	buffer_load_dword v17, v11, s[36:39], 0 offen              // 00000000360C: E0501000 8009110B
	buffer_load_dword v17, v8, s[40:43], 0 offen               // 000000003614: E0501000 800A1108
	buffer_load_dword v18, v9, s[40:43], 0 offen               // 00000000361C: E0501000 800A1209
	buffer_load_dword v24, s[20:23], 0 offen lds               // 000000003624: E0511000 80050018
	s_add_u32 m0, 0x100, s50                                   // 00000000362C: 807C32FF 00000100
	buffer_load_dword v25, s[20:23], 0 offen lds               // 000000003634: E0511000 80050019
	s_add_u32 m0, 0x200, s50                                   // 00000000363C: 807C32FF 00000200
	buffer_load_dword v26, s[20:23], 0 offen lds               // 000000003644: E0511000 8005001A
	s_add_u32 m0, 0x300, s50                                   // 00000000364C: 807C32FF 00000300
	buffer_load_dword v27, s[20:23], 0 offen lds               // 000000003654: E0511000 8005001B
	s_add_u32 m0, 0x400, s50                                   // 00000000365C: 807C32FF 00000400
	buffer_load_dword v28, s[20:23], 0 offen lds               // 000000003664: E0511000 8005001C
	s_add_u32 m0, 0x500, s50                                   // 00000000366C: 807C32FF 00000500
	buffer_load_dword v29, s[20:23], 0 offen lds               // 000000003674: E0511000 8005001D
	s_add_u32 m0, 0x600, s50                                   // 00000000367C: 807C32FF 00000600
	buffer_load_dword v30, s[20:23], 0 offen lds               // 000000003684: E0511000 8005001E
	s_add_u32 m0, 0x700, s50                                   // 00000000368C: 807C32FF 00000700
	buffer_load_dword v31, s[20:23], 0 offen lds               // 000000003694: E0511000 8005001F
	s_add_u32 m0, 0, s51                                       // 00000000369C: 807C3380
	s_add_u32 s20, s57, s20                                    // 0000000036A0: 80141439
	s_addc_u32 s21, 0, s21                                     // 0000000036A4: 82151580
	buffer_load_dword v24, s[20:23], 0 offen lds               // 0000000036A8: E0511000 80050018
	s_add_u32 m0, 0x100, s51                                   // 0000000036B0: 807C33FF 00000100
	buffer_load_dword v25, s[20:23], 0 offen lds               // 0000000036B8: E0511000 80050019
	s_add_u32 m0, 0x200, s51                                   // 0000000036C0: 807C33FF 00000200
	buffer_load_dword v26, s[20:23], 0 offen lds               // 0000000036C8: E0511000 8005001A
	s_add_u32 m0, 0x300, s51                                   // 0000000036D0: 807C33FF 00000300
	buffer_load_dword v27, s[20:23], 0 offen lds               // 0000000036D8: E0511000 8005001B
	s_add_u32 m0, 0x400, s51                                   // 0000000036E0: 807C33FF 00000400
	buffer_load_dword v28, s[20:23], 0 offen lds               // 0000000036E8: E0511000 8005001C
	s_add_u32 m0, 0x500, s51                                   // 0000000036F0: 807C33FF 00000500
	buffer_load_dword v29, s[20:23], 0 offen lds               // 0000000036F8: E0511000 8005001D
	s_add_u32 m0, 0x600, s51                                   // 000000003700: 807C33FF 00000600
	buffer_load_dword v30, s[20:23], 0 offen lds               // 000000003708: E0511000 8005001E
	s_add_u32 m0, 0x700, s51                                   // 000000003710: 807C33FF 00000700
	buffer_load_dword v31, s[20:23], 0 offen lds               // 000000003718: E0511000 8005001F
	s_add_u32 m0, 0, s50                                       // 000000003720: 807C3280
	s_add_u32 s20, s57, s20                                    // 000000003724: 80141439
	s_addc_u32 s21, 0, s21                                     // 000000003728: 82151580
	buffer_load_dwordx4 a[0:3], v32, s[24:27], 0 offen         // 00000000372C: E05C1000 80860020
	buffer_load_dwordx4 a[4:7], v32, s[24:27], 0 offen offset:1024// 000000003734: E05C1400 80860420
	buffer_load_dwordx4 a[8:11], v32, s[24:27], 0 offen offset:2048// 00000000373C: E05C1800 80860820
	buffer_load_dwordx4 a[12:15], v32, s[24:27], 0 offen offset:3072// 000000003744: E05C1C00 80860C20
	buffer_load_dwordx4 a[16:19], v33, s[24:27], 0 offen       // 00000000374C: E05C1000 80861021
	buffer_load_dwordx4 a[20:23], v33, s[24:27], 0 offen offset:1024// 000000003754: E05C1400 80861421
	buffer_load_dwordx4 a[24:27], v33, s[24:27], 0 offen offset:2048// 00000000375C: E05C1800 80861821
	buffer_load_dwordx4 a[28:31], v33, s[24:27], 0 offen offset:3072// 000000003764: E05C1C00 80861C21
	buffer_load_dwordx4 a[32:35], v34, s[24:27], 0 offen       // 00000000376C: E05C1000 80862022
	buffer_load_dwordx4 a[36:39], v34, s[24:27], 0 offen offset:1024// 000000003774: E05C1400 80862422
	buffer_load_dwordx4 a[40:43], v34, s[24:27], 0 offen offset:2048// 00000000377C: E05C1800 80862822
	buffer_load_dwordx4 a[44:47], v34, s[24:27], 0 offen offset:3072// 000000003784: E05C1C00 80862C22
	s_add_u32 s24, s58, s24                                    // 00000000378C: 8018183A
	s_addc_u32 s25, 0, s25                                     // 000000003790: 82191980
	v_mov_b32_e32 v128, 0                                      // 000000003794: 7F000280
	v_mov_b32_e32 v129, 0                                      // 000000003798: 7F020280
	v_mov_b32_e32 v130, 0                                      // 00000000379C: 7F040280
	v_mov_b32_e32 v131, 0                                      // 0000000037A0: 7F060280
	v_mov_b32_e32 v132, 0                                      // 0000000037A4: 7F080280
	v_mov_b32_e32 v133, 0                                      // 0000000037A8: 7F0A0280
	v_mov_b32_e32 v134, 0                                      // 0000000037AC: 7F0C0280
	v_mov_b32_e32 v135, 0                                      // 0000000037B0: 7F0E0280
	v_mov_b32_e32 v136, 0                                      // 0000000037B4: 7F100280
	v_mov_b32_e32 v137, 0                                      // 0000000037B8: 7F120280
	v_mov_b32_e32 v138, 0                                      // 0000000037BC: 7F140280
	v_mov_b32_e32 v139, 0                                      // 0000000037C0: 7F160280
	v_mov_b32_e32 v140, 0                                      // 0000000037C4: 7F180280
	v_mov_b32_e32 v141, 0                                      // 0000000037C8: 7F1A0280
	v_mov_b32_e32 v142, 0                                      // 0000000037CC: 7F1C0280
	v_mov_b32_e32 v143, 0                                      // 0000000037D0: 7F1E0280
	v_mov_b32_e32 v144, 0                                      // 0000000037D4: 7F200280
	v_mov_b32_e32 v145, 0                                      // 0000000037D8: 7F220280
	v_mov_b32_e32 v146, 0                                      // 0000000037DC: 7F240280
	v_mov_b32_e32 v147, 0                                      // 0000000037E0: 7F260280
	v_mov_b32_e32 v148, 0                                      // 0000000037E4: 7F280280
	v_mov_b32_e32 v149, 0                                      // 0000000037E8: 7F2A0280
	v_mov_b32_e32 v150, 0                                      // 0000000037EC: 7F2C0280
	v_mov_b32_e32 v151, 0                                      // 0000000037F0: 7F2E0280
	v_lshrrev_b32_e32 v44, 4, v0                               // 0000000037F4: 20580084
	v_mul_i32_i24_e32 v3, 34, v44                              // 0000000037F8: 0C0658A2
	v_and_b32_e32 v44, 15, v0                                  // 0000000037FC: 2658008F
	v_mul_i32_i24_e32 v45, 2, v44                              // 000000003800: 0C5A5882
	v_add_u32_e32 v3, v45, v3                                  // 000000003804: 6806072D
	s_mul_i32 s60, s7, 0x88                                    // 000000003808: 923CFF07 00000088
	v_add_u32_e32 v3, s60, v3                                  // 000000003810: 6806063C
	v_lshlrev_b32_e32 v3, 2, v3                                // 000000003814: 24060682
	v_lshrrev_b32_e32 v44, 1, v0                               // 000000003818: 20580081
	v_mul_i32_i24_e32 v4, 34, v44                              // 00000000381C: 0C0858A2
	v_and_b32_e32 v45, 1, v0                                   // 000000003820: 265A0081
	v_add_u32_e32 v4, v45, v4                                  // 000000003824: 6808092D
	s_mul_i32 s60, s7, 2                                       // 000000003828: 923C8207
	v_add_u32_e32 v4, s60, v4                                  // 00000000382C: 6808083C
	v_lshlrev_b32_e32 v4, 2, v4                                // 000000003830: 24080882
	s_waitcnt vmcnt(20)                                        // 000000003834: BF8C4F74
	s_barrier                                                  // 000000003838: BF8A0000
	ds_read_b128 v[152:155], v2                                // 00000000383C: D9FE0000 98000002
	ds_read_b128 v[156:159], v2 offset:64                      // 000000003844: D9FE0040 9C000002
	ds_read_b128 v[160:163], v2 offset:128                     // 00000000384C: D9FE0080 A0000002
	ds_read_b128 v[164:167], v2 offset:192                     // 000000003854: D9FE00C0 A4000002
	ds_read_b128 v[168:171], v2 offset:1024                    // 00000000385C: D9FE0400 A8000002
	ds_read_b128 v[172:175], v2 offset:1088                    // 000000003864: D9FE0440 AC000002
	ds_read_b128 v[176:179], v2 offset:1152                    // 00000000386C: D9FE0480 B0000002
	ds_read_b128 v[180:183], v2 offset:1216                    // 000000003874: D9FE04C0 B4000002
	s_cmp_lt_i32 s7, 2                                         // 00000000387C: BF048207
	s_cbranch_scc0 label_0BEE                                  // 000000003880: BF84094D

0000000000003884 <label_02A1>:
	s_waitcnt vmcnt(4) lgkmcnt(0)                              // 000000003884: BF8C0074
	s_barrier                                                  // 000000003888: BF8A0000
	v_mfma_i32_16x16x32_i8 v[128:131], a[0:1], v[152:153], v[128:131]// 00000000388C: D3D70080 0E033100
	v_mfma_i32_16x16x32_i8 v[128:131], a[2:3], v[154:155], v[128:131]// 000000003894: D3D70080 0E033502
	buffer_load_dwordx4 a[48:51], v32, s[24:27], 0 offen       // 00000000389C: E05C1000 80863020
	v_mfma_i32_16x16x32_i8 v[128:131], a[4:5], v[156:157], v[128:131]// 0000000038A4: D3D70080 0E033904
	v_mfma_i32_16x16x32_i8 v[128:131], a[6:7], v[158:159], v[128:131]// 0000000038AC: D3D70080 0E033D06
	buffer_load_dword v24, s[20:23], 0 offen lds               // 0000000038B4: E0511000 80050018
	s_add_u32 m0, 0x100, s50                                   // 0000000038BC: 807C32FF 00000100
	v_mfma_i32_16x16x32_i8 v[128:131], a[8:9], v[160:161], v[128:131]// 0000000038C4: D3D70080 0E034108
	v_mfma_i32_16x16x32_i8 v[128:131], a[10:11], v[162:163], v[128:131]// 0000000038CC: D3D70080 0E03450A
	buffer_load_dwordx4 a[52:55], v32, s[24:27], 0 offen offset:1024// 0000000038D4: E05C1400 80863420
	v_mfma_i32_16x16x32_i8 v[128:131], a[12:13], v[164:165], v[128:131]// 0000000038DC: D3D70080 0E03490C
	v_mfma_i32_16x16x32_i8 v[128:131], a[14:15], v[166:167], v[128:131]// 0000000038E4: D3D70080 0E034D0E
	buffer_load_dword v25, s[20:23], 0 offen lds               // 0000000038EC: E0511000 80050019
	s_add_u32 m0, 0x200, s50                                   // 0000000038F4: 807C32FF 00000200
	v_mfma_i32_16x16x32_i8 v[132:135], a[0:1], v[168:169], v[132:135]// 0000000038FC: D3D70084 0E135100
	v_mfma_i32_16x16x32_i8 v[132:135], a[2:3], v[170:171], v[132:135]// 000000003904: D3D70084 0E135502
	buffer_load_dwordx4 a[56:59], v32, s[24:27], 0 offen offset:2048// 00000000390C: E05C1800 80863820
	v_mfma_i32_16x16x32_i8 v[132:135], a[4:5], v[172:173], v[132:135]// 000000003914: D3D70084 0E135904
	v_mfma_i32_16x16x32_i8 v[132:135], a[6:7], v[174:175], v[132:135]// 00000000391C: D3D70084 0E135D06
	buffer_load_dword v26, s[20:23], 0 offen lds               // 000000003924: E0511000 8005001A
	s_add_u32 m0, 0x300, s50                                   // 00000000392C: 807C32FF 00000300
	v_mfma_i32_16x16x32_i8 v[132:135], a[8:9], v[176:177], v[132:135]// 000000003934: D3D70084 0E136108
	v_mfma_i32_16x16x32_i8 v[132:135], a[10:11], v[178:179], v[132:135]// 00000000393C: D3D70084 0E13650A
	buffer_load_dwordx4 a[60:63], v32, s[24:27], 0 offen offset:3072// 000000003944: E05C1C00 80863C20
	v_mfma_i32_16x16x32_i8 v[132:135], a[12:13], v[180:181], v[132:135]// 00000000394C: D3D70084 0E13690C
	v_mfma_i32_16x16x32_i8 v[132:135], a[14:15], v[182:183], v[132:135]// 000000003954: D3D70084 0E136D0E
	buffer_load_dword v27, s[20:23], 0 offen lds               // 00000000395C: E0511000 8005001B
	s_add_u32 m0, 0x400, s50                                   // 000000003964: 807C32FF 00000400
	v_mfma_i32_16x16x32_i8 v[136:139], a[16:17], v[152:153], v[136:139]// 00000000396C: D3D70088 0E233110
	v_mfma_i32_16x16x32_i8 v[136:139], a[18:19], v[154:155], v[136:139]// 000000003974: D3D70088 0E233512
	buffer_load_dwordx4 a[64:67], v33, s[24:27], 0 offen       // 00000000397C: E05C1000 80864021
	v_mfma_i32_16x16x32_i8 v[136:139], a[20:21], v[156:157], v[136:139]// 000000003984: D3D70088 0E233914
	v_mfma_i32_16x16x32_i8 v[136:139], a[22:23], v[158:159], v[136:139]// 00000000398C: D3D70088 0E233D16
	buffer_load_dword v28, s[20:23], 0 offen lds               // 000000003994: E0511000 8005001C
	s_add_u32 m0, 0x500, s50                                   // 00000000399C: 807C32FF 00000500
	ds_read_b128 v[184:187], v2 offset:8320                    // 0000000039A4: D9FE2080 B8000002
	v_mfma_i32_16x16x32_i8 v[136:139], a[24:25], v[160:161], v[136:139]// 0000000039AC: D3D70088 0E234118
	v_mfma_i32_16x16x32_i8 v[136:139], a[26:27], v[162:163], v[136:139]// 0000000039B4: D3D70088 0E23451A
	buffer_load_dwordx4 a[68:71], v33, s[24:27], 0 offen offset:1024// 0000000039BC: E05C1400 80864421
	v_mfma_i32_16x16x32_i8 v[136:139], a[28:29], v[164:165], v[136:139]// 0000000039C4: D3D70088 0E23491C
	v_mfma_i32_16x16x32_i8 v[136:139], a[30:31], v[166:167], v[136:139]// 0000000039CC: D3D70088 0E234D1E
	buffer_load_dword v29, s[20:23], 0 offen lds               // 0000000039D4: E0511000 8005001D
	s_add_u32 m0, 0x600, s50                                   // 0000000039DC: 807C32FF 00000600
	ds_read_b128 v[188:191], v2 offset:8384                    // 0000000039E4: D9FE20C0 BC000002
	v_mfma_i32_16x16x32_i8 v[140:143], a[16:17], v[168:169], v[140:143]// 0000000039EC: D3D7008C 0E335110
	v_mfma_i32_16x16x32_i8 v[140:143], a[18:19], v[170:171], v[140:143]// 0000000039F4: D3D7008C 0E335512
	buffer_load_dwordx4 a[72:75], v33, s[24:27], 0 offen offset:2048// 0000000039FC: E05C1800 80864821
	v_mfma_i32_16x16x32_i8 v[140:143], a[20:21], v[172:173], v[140:143]// 000000003A04: D3D7008C 0E335914
	v_mfma_i32_16x16x32_i8 v[140:143], a[22:23], v[174:175], v[140:143]// 000000003A0C: D3D7008C 0E335D16
	buffer_load_dword v30, s[20:23], 0 offen lds               // 000000003A14: E0511000 8005001E
	s_add_u32 m0, 0x700, s50                                   // 000000003A1C: 807C32FF 00000700
	ds_read_b128 v[192:195], v2 offset:8448                    // 000000003A24: D9FE2100 C0000002
	v_mfma_i32_16x16x32_i8 v[140:143], a[24:25], v[176:177], v[140:143]// 000000003A2C: D3D7008C 0E336118
	v_mfma_i32_16x16x32_i8 v[140:143], a[26:27], v[178:179], v[140:143]// 000000003A34: D3D7008C 0E33651A
	buffer_load_dwordx4 a[76:79], v33, s[24:27], 0 offen offset:3072// 000000003A3C: E05C1C00 80864C21
	v_mfma_i32_16x16x32_i8 v[140:143], a[28:29], v[180:181], v[140:143]// 000000003A44: D3D7008C 0E33691C
	v_mfma_i32_16x16x32_i8 v[140:143], a[30:31], v[182:183], v[140:143]// 000000003A4C: D3D7008C 0E336D1E
	buffer_load_dword v31, s[20:23], 0 offen lds               // 000000003A54: E0511000 8005001F
	s_add_u32 m0, 0, s51                                       // 000000003A5C: 807C3380
	ds_read_b128 v[196:199], v2 offset:8512                    // 000000003A60: D9FE2140 C4000002
	s_waitcnt vmcnt(16)                                        // 000000003A68: BF8C4F70
	v_mfma_i32_16x16x32_i8 v[144:147], a[32:33], v[152:153], v[144:147]// 000000003A6C: D3D70090 0E433120
	v_mfma_i32_16x16x32_i8 v[144:147], a[34:35], v[154:155], v[144:147]// 000000003A74: D3D70090 0E433522
	buffer_load_dwordx4 a[80:83], v34, s[24:27], 0 offen       // 000000003A7C: E05C1000 80865022
	v_mfma_i32_16x16x32_i8 v[144:147], a[36:37], v[156:157], v[144:147]// 000000003A84: D3D70090 0E433924
	v_mfma_i32_16x16x32_i8 v[144:147], a[38:39], v[158:159], v[144:147]// 000000003A8C: D3D70090 0E433D26
	ds_read_b128 v[200:203], v2 offset:9344                    // 000000003A94: D9FE2480 C8000002
	v_mfma_i32_16x16x32_i8 v[144:147], a[40:41], v[160:161], v[144:147]// 000000003A9C: D3D70090 0E434128
	v_mfma_i32_16x16x32_i8 v[144:147], a[42:43], v[162:163], v[144:147]// 000000003AA4: D3D70090 0E43452A
	buffer_load_dwordx4 a[84:87], v34, s[24:27], 0 offen offset:1024// 000000003AAC: E05C1400 80865422
	v_mfma_i32_16x16x32_i8 v[144:147], a[44:45], v[164:165], v[144:147]// 000000003AB4: D3D70090 0E43492C
	v_mfma_i32_16x16x32_i8 v[144:147], a[46:47], v[166:167], v[144:147]// 000000003ABC: D3D70090 0E434D2E
	ds_read_b128 v[204:207], v2 offset:9408                    // 000000003AC4: D9FE24C0 CC000002
	v_mfma_i32_16x16x32_i8 v[148:151], a[32:33], v[168:169], v[148:151]// 000000003ACC: D3D70094 0E535120
	v_mfma_i32_16x16x32_i8 v[148:151], a[34:35], v[170:171], v[148:151]// 000000003AD4: D3D70094 0E535522
	buffer_load_dwordx4 a[88:91], v34, s[24:27], 0 offen offset:2048// 000000003ADC: E05C1800 80865822
	v_mfma_i32_16x16x32_i8 v[148:151], a[36:37], v[172:173], v[148:151]// 000000003AE4: D3D70094 0E535924
	v_mfma_i32_16x16x32_i8 v[148:151], a[38:39], v[174:175], v[148:151]// 000000003AEC: D3D70094 0E535D26
	ds_read_b128 v[208:211], v2 offset:9472                    // 000000003AF4: D9FE2500 D0000002
	v_mfma_i32_16x16x32_i8 v[148:151], a[40:41], v[176:177], v[148:151]// 000000003AFC: D3D70094 0E536128
	v_mfma_i32_16x16x32_i8 v[148:151], a[42:43], v[178:179], v[148:151]// 000000003B04: D3D70094 0E53652A
	buffer_load_dwordx4 a[92:95], v34, s[24:27], 0 offen offset:3072// 000000003B0C: E05C1C00 80865C22
	v_mfma_i32_16x16x32_i8 v[148:151], a[44:45], v[180:181], v[148:151]// 000000003B14: D3D70094 0E53692C
	v_mfma_i32_16x16x32_i8 v[148:151], a[46:47], v[182:183], v[148:151]// 000000003B1C: D3D70094 0E536D2E
	ds_read_b128 v[212:215], v2 offset:9536                    // 000000003B24: D9FE2540 D4000002
	s_add_u32 s60, 0x300, s80                                  // 000000003B2C: 803C50FF 00000300
	s_cmp_lt_u32 s60, s81                                      // 000000003B34: BF0A513C
	s_cselect_b32 s57, s57, 0                                  // 000000003B38: 85398039
	s_add_u32 s60, 0x200, s80                                  // 000000003B3C: 803C50FF 00000200
	s_cmp_lt_u32 s60, s81                                      // 000000003B44: BF0A513C
	s_cselect_b32 s58, s58, 0                                  // 000000003B48: 853A803A
	s_add_u32 s20, s57, s20                                    // 000000003B4C: 80141439
	s_addc_u32 s21, 0, s21                                     // 000000003B50: 82151580
	s_add_u32 s24, s58, s24                                    // 000000003B54: 8018183A
	s_addc_u32 s25, 0, s25                                     // 000000003B58: 82191980
	s_addk_i32 s80, 0x100                                      // 000000003B5C: B7500100
	s_cmp_lt_i32 s80, s81                                      // 000000003B60: BF045150
	s_cbranch_scc0 label_0414                                  // 000000003B64: BF8400BA
	s_waitcnt vmcnt(4) lgkmcnt(0)                              // 000000003B68: BF8C0074
	s_barrier                                                  // 000000003B6C: BF8A0000
	v_mfma_i32_16x16x32_i8 v[128:131], a[48:49], v[184:185], v[128:131]// 000000003B70: D3D70080 0E037130
	v_mfma_i32_16x16x32_i8 v[128:131], a[50:51], v[186:187], v[128:131]// 000000003B78: D3D70080 0E037532
	buffer_load_dwordx4 a[0:3], v32, s[24:27], 0 offen         // 000000003B80: E05C1000 80860020
	v_mfma_i32_16x16x32_i8 v[128:131], a[52:53], v[188:189], v[128:131]// 000000003B88: D3D70080 0E037934
	v_mfma_i32_16x16x32_i8 v[128:131], a[54:55], v[190:191], v[128:131]// 000000003B90: D3D70080 0E037D36
	buffer_load_dword v24, s[20:23], 0 offen lds               // 000000003B98: E0511000 80050018
	s_add_u32 m0, 0x100, s51                                   // 000000003BA0: 807C33FF 00000100
	v_mfma_i32_16x16x32_i8 v[128:131], a[56:57], v[192:193], v[128:131]// 000000003BA8: D3D70080 0E038138
	v_mfma_i32_16x16x32_i8 v[128:131], a[58:59], v[194:195], v[128:131]// 000000003BB0: D3D70080 0E03853A
	buffer_load_dwordx4 a[4:7], v32, s[24:27], 0 offen offset:1024// 000000003BB8: E05C1400 80860420
	v_mfma_i32_16x16x32_i8 v[128:131], a[60:61], v[196:197], v[128:131]// 000000003BC0: D3D70080 0E03893C
	v_mfma_i32_16x16x32_i8 v[128:131], a[62:63], v[198:199], v[128:131]// 000000003BC8: D3D70080 0E038D3E
	buffer_load_dword v25, s[20:23], 0 offen lds               // 000000003BD0: E0511000 80050019
	s_add_u32 m0, 0x200, s51                                   // 000000003BD8: 807C33FF 00000200
	v_mfma_i32_16x16x32_i8 v[132:135], a[48:49], v[200:201], v[132:135]// 000000003BE0: D3D70084 0E139130
	v_mfma_i32_16x16x32_i8 v[132:135], a[50:51], v[202:203], v[132:135]// 000000003BE8: D3D70084 0E139532
	buffer_load_dwordx4 a[8:11], v32, s[24:27], 0 offen offset:2048// 000000003BF0: E05C1800 80860820
	v_mfma_i32_16x16x32_i8 v[132:135], a[52:53], v[204:205], v[132:135]// 000000003BF8: D3D70084 0E139934
	v_mfma_i32_16x16x32_i8 v[132:135], a[54:55], v[206:207], v[132:135]// 000000003C00: D3D70084 0E139D36
	buffer_load_dword v26, s[20:23], 0 offen lds               // 000000003C08: E0511000 8005001A
	s_add_u32 m0, 0x300, s51                                   // 000000003C10: 807C33FF 00000300
	v_mfma_i32_16x16x32_i8 v[132:135], a[56:57], v[208:209], v[132:135]// 000000003C18: D3D70084 0E13A138
	v_mfma_i32_16x16x32_i8 v[132:135], a[58:59], v[210:211], v[132:135]// 000000003C20: D3D70084 0E13A53A
	buffer_load_dwordx4 a[12:15], v32, s[24:27], 0 offen offset:3072// 000000003C28: E05C1C00 80860C20
	v_mfma_i32_16x16x32_i8 v[132:135], a[60:61], v[212:213], v[132:135]// 000000003C30: D3D70084 0E13A93C
	v_mfma_i32_16x16x32_i8 v[132:135], a[62:63], v[214:215], v[132:135]// 000000003C38: D3D70084 0E13AD3E
	buffer_load_dword v27, s[20:23], 0 offen lds               // 000000003C40: E0511000 8005001B
	s_add_u32 m0, 0x400, s51                                   // 000000003C48: 807C33FF 00000400
	v_mfma_i32_16x16x32_i8 v[136:139], a[64:65], v[184:185], v[136:139]// 000000003C50: D3D70088 0E237140
	v_mfma_i32_16x16x32_i8 v[136:139], a[66:67], v[186:187], v[136:139]// 000000003C58: D3D70088 0E237542
	buffer_load_dwordx4 a[16:19], v33, s[24:27], 0 offen       // 000000003C60: E05C1000 80861021
	v_mfma_i32_16x16x32_i8 v[136:139], a[68:69], v[188:189], v[136:139]// 000000003C68: D3D70088 0E237944
	v_mfma_i32_16x16x32_i8 v[136:139], a[70:71], v[190:191], v[136:139]// 000000003C70: D3D70088 0E237D46
	buffer_load_dword v28, s[20:23], 0 offen lds               // 000000003C78: E0511000 8005001C
	s_add_u32 m0, 0x500, s51                                   // 000000003C80: 807C33FF 00000500
	ds_read_b128 v[152:155], v2                                // 000000003C88: D9FE0000 98000002
	v_mfma_i32_16x16x32_i8 v[136:139], a[72:73], v[192:193], v[136:139]// 000000003C90: D3D70088 0E238148
	v_mfma_i32_16x16x32_i8 v[136:139], a[74:75], v[194:195], v[136:139]// 000000003C98: D3D70088 0E23854A
	buffer_load_dwordx4 a[20:23], v33, s[24:27], 0 offen offset:1024// 000000003CA0: E05C1400 80861421
	v_mfma_i32_16x16x32_i8 v[136:139], a[76:77], v[196:197], v[136:139]// 000000003CA8: D3D70088 0E23894C
	v_mfma_i32_16x16x32_i8 v[136:139], a[78:79], v[198:199], v[136:139]// 000000003CB0: D3D70088 0E238D4E
	buffer_load_dword v29, s[20:23], 0 offen lds               // 000000003CB8: E0511000 8005001D
	s_add_u32 m0, 0x600, s51                                   // 000000003CC0: 807C33FF 00000600
	ds_read_b128 v[156:159], v2 offset:64                      // 000000003CC8: D9FE0040 9C000002
	v_mfma_i32_16x16x32_i8 v[140:143], a[64:65], v[200:201], v[140:143]// 000000003CD0: D3D7008C 0E339140
	v_mfma_i32_16x16x32_i8 v[140:143], a[66:67], v[202:203], v[140:143]// 000000003CD8: D3D7008C 0E339542
	buffer_load_dwordx4 a[24:27], v33, s[24:27], 0 offen offset:2048// 000000003CE0: E05C1800 80861821
	v_mfma_i32_16x16x32_i8 v[140:143], a[68:69], v[204:205], v[140:143]// 000000003CE8: D3D7008C 0E339944
	v_mfma_i32_16x16x32_i8 v[140:143], a[70:71], v[206:207], v[140:143]// 000000003CF0: D3D7008C 0E339D46
	buffer_load_dword v30, s[20:23], 0 offen lds               // 000000003CF8: E0511000 8005001E
	s_add_u32 m0, 0x700, s51                                   // 000000003D00: 807C33FF 00000700
	ds_read_b128 v[160:163], v2 offset:128                     // 000000003D08: D9FE0080 A0000002
	v_mfma_i32_16x16x32_i8 v[140:143], a[72:73], v[208:209], v[140:143]// 000000003D10: D3D7008C 0E33A148
	v_mfma_i32_16x16x32_i8 v[140:143], a[74:75], v[210:211], v[140:143]// 000000003D18: D3D7008C 0E33A54A
	buffer_load_dwordx4 a[28:31], v33, s[24:27], 0 offen offset:3072// 000000003D20: E05C1C00 80861C21
	v_mfma_i32_16x16x32_i8 v[140:143], a[76:77], v[212:213], v[140:143]// 000000003D28: D3D7008C 0E33A94C
	v_mfma_i32_16x16x32_i8 v[140:143], a[78:79], v[214:215], v[140:143]// 000000003D30: D3D7008C 0E33AD4E
	buffer_load_dword v31, s[20:23], 0 offen lds               // 000000003D38: E0511000 8005001F
	s_add_u32 m0, 0, s50                                       // 000000003D40: 807C3280
	ds_read_b128 v[164:167], v2 offset:192                     // 000000003D44: D9FE00C0 A4000002
	s_waitcnt vmcnt(16)                                        // 000000003D4C: BF8C4F70
	v_mfma_i32_16x16x32_i8 v[144:147], a[80:81], v[184:185], v[144:147]// 000000003D50: D3D70090 0E437150
	v_mfma_i32_16x16x32_i8 v[144:147], a[82:83], v[186:187], v[144:147]// 000000003D58: D3D70090 0E437552
	buffer_load_dwordx4 a[32:35], v34, s[24:27], 0 offen       // 000000003D60: E05C1000 80862022
	v_mfma_i32_16x16x32_i8 v[144:147], a[84:85], v[188:189], v[144:147]// 000000003D68: D3D70090 0E437954
	v_mfma_i32_16x16x32_i8 v[144:147], a[86:87], v[190:191], v[144:147]// 000000003D70: D3D70090 0E437D56
	ds_read_b128 v[168:171], v2 offset:1024                    // 000000003D78: D9FE0400 A8000002
	v_mfma_i32_16x16x32_i8 v[144:147], a[88:89], v[192:193], v[144:147]// 000000003D80: D3D70090 0E438158
	v_mfma_i32_16x16x32_i8 v[144:147], a[90:91], v[194:195], v[144:147]// 000000003D88: D3D70090 0E43855A
	buffer_load_dwordx4 a[36:39], v34, s[24:27], 0 offen offset:1024// 000000003D90: E05C1400 80862422
	v_mfma_i32_16x16x32_i8 v[144:147], a[92:93], v[196:197], v[144:147]// 000000003D98: D3D70090 0E43895C
	v_mfma_i32_16x16x32_i8 v[144:147], a[94:95], v[198:199], v[144:147]// 000000003DA0: D3D70090 0E438D5E
	ds_read_b128 v[172:175], v2 offset:1088                    // 000000003DA8: D9FE0440 AC000002
	v_mfma_i32_16x16x32_i8 v[148:151], a[80:81], v[200:201], v[148:151]// 000000003DB0: D3D70094 0E539150
	v_mfma_i32_16x16x32_i8 v[148:151], a[82:83], v[202:203], v[148:151]// 000000003DB8: D3D70094 0E539552
	buffer_load_dwordx4 a[40:43], v34, s[24:27], 0 offen offset:2048// 000000003DC0: E05C1800 80862822
	v_mfma_i32_16x16x32_i8 v[148:151], a[84:85], v[204:205], v[148:151]// 000000003DC8: D3D70094 0E539954
	v_mfma_i32_16x16x32_i8 v[148:151], a[86:87], v[206:207], v[148:151]// 000000003DD0: D3D70094 0E539D56
	ds_read_b128 v[176:179], v2 offset:1152                    // 000000003DD8: D9FE0480 B0000002
	v_mfma_i32_16x16x32_i8 v[148:151], a[88:89], v[208:209], v[148:151]// 000000003DE0: D3D70094 0E53A158
	v_mfma_i32_16x16x32_i8 v[148:151], a[90:91], v[210:211], v[148:151]// 000000003DE8: D3D70094 0E53A55A
	buffer_load_dwordx4 a[44:47], v34, s[24:27], 0 offen offset:3072// 000000003DF0: E05C1C00 80862C22
	v_mfma_i32_16x16x32_i8 v[148:151], a[92:93], v[212:213], v[148:151]// 000000003DF8: D3D70094 0E53A95C
	v_mfma_i32_16x16x32_i8 v[148:151], a[94:95], v[214:215], v[148:151]// 000000003E00: D3D70094 0E53AD5E
	ds_read_b128 v[180:183], v2 offset:1216                    // 000000003E08: D9FE04C0 B4000002
	s_add_u32 s60, 0x300, s80                                  // 000000003E10: 803C50FF 00000300
	s_cmp_lt_u32 s60, s81                                      // 000000003E18: BF0A513C
	s_cselect_b32 s57, s57, 0                                  // 000000003E1C: 85398039
	s_add_u32 s60, 0x200, s80                                  // 000000003E20: 803C50FF 00000200
	s_cmp_lt_u32 s60, s81                                      // 000000003E28: BF0A513C
	s_cselect_b32 s58, s58, 0                                  // 000000003E2C: 853A803A
	s_add_u32 s20, s57, s20                                    // 000000003E30: 80141439
	s_addc_u32 s21, 0, s21                                     // 000000003E34: 82151580
	s_add_u32 s24, s58, s24                                    // 000000003E38: 8018183A
	s_addc_u32 s25, 0, s25                                     // 000000003E3C: 82191980
	s_addk_i32 s80, 0x100                                      // 000000003E40: B7500100
	s_cmp_lt_i32 s80, s81                                      // 000000003E44: BF045150
	s_cbranch_scc0 label_0414                                  // 000000003E48: BF840001
	s_branch label_02A1                                        // 000000003E4C: BF82FE8D

0000000000003e50 <label_0414>:
	s_mov_b32 s36, -1                                          // 000000003E50: BEA400C1
	s_mov_b32 s37, -1                                          // 000000003E54: BEA500C1
	s_mov_b64 s[60:61], 0                                      // 000000003E58: BEBC0180
	s_cmp_lt_u32 s82, s66                                      // 000000003E5C: BF0A4252
	s_cselect_b64 s[20:21], s[36:37], s[60:61]                 // 000000003E60: 85943C24
	s_cmp_lt_u32 s83, s66                                      // 000000003E64: BF0A4253
	s_cselect_b64 s[22:23], s[36:37], s[60:61]                 // 000000003E68: 85963C24
	s_cmp_lt_u32 s84, s66                                      // 000000003E6C: BF0A4254
	s_cselect_b64 s[24:25], s[36:37], s[60:61]                 // 000000003E70: 85983C24
	s_cmp_lt_u32 s85, s66                                      // 000000003E74: BF0A4255
	s_cselect_b64 s[26:27], s[36:37], s[60:61]                 // 000000003E78: 859A3C24
	s_cmp_lt_u32 s86, s66                                      // 000000003E7C: BF0A4256
	s_cselect_b64 s[28:29], s[36:37], s[60:61]                 // 000000003E80: 859C3C24
	s_cmp_lt_u32 s87, s66                                      // 000000003E84: BF0A4257
	s_cselect_b64 s[30:31], s[36:37], s[60:61]                 // 000000003E88: 859E3C24
	s_cmp_lt_u32 s88, s66                                      // 000000003E8C: BF0A4258
	s_cselect_b64 s[32:33], s[36:37], s[60:61]                 // 000000003E90: 85A03C24
	s_cmp_lt_u32 s89, s66                                      // 000000003E94: BF0A4259
	s_cselect_b64 s[34:35], s[36:37], s[60:61]                 // 000000003E98: 85A23C24
	v_cvt_f32_i32_e32 v128, v128                               // 000000003E9C: 7F000B80
	v_cvt_f32_i32_e32 v129, v129                               // 000000003EA0: 7F020B81
	v_cvt_f32_i32_e32 v130, v130                               // 000000003EA4: 7F040B82
	v_cvt_f32_i32_e32 v131, v131                               // 000000003EA8: 7F060B83
	v_mul_f32_e32 v128, v13, v128                              // 000000003EAC: 0B01010D
	v_mul_f32_e32 v129, v13, v129                              // 000000003EB0: 0B03030D
	v_mul_f32_e32 v130, v13, v130                              // 000000003EB4: 0B05050D
	v_mul_f32_e32 v131, v13, v131                              // 000000003EB8: 0B07070D
	v_mul_f32_dpp v128, v15, v128 row_newbcast:0 row_mask:0xf bank_mask:0xf// 000000003EBC: 0B0100FA FF01500F
	v_mul_f32_dpp v129, v15, v129 row_newbcast:1 row_mask:0xf bank_mask:0xf// 000000003EC4: 0B0302FA FF01510F
	v_mul_f32_dpp v130, v15, v130 row_newbcast:2 row_mask:0xf bank_mask:0xf// 000000003ECC: 0B0504FA FF01520F
	v_mul_f32_dpp v131, v15, v131 row_newbcast:3 row_mask:0xf bank_mask:0xf// 000000003ED4: 0B0706FA FF01530F
	v_cvt_f32_i32_e32 v132, v132                               // 000000003EDC: 7F080B84
	v_cvt_f32_i32_e32 v133, v133                               // 000000003EE0: 7F0A0B85
	v_cvt_f32_i32_e32 v134, v134                               // 000000003EE4: 7F0C0B86
	v_cvt_f32_i32_e32 v135, v135                               // 000000003EE8: 7F0E0B87
	v_mul_f32_e32 v132, v14, v132                              // 000000003EEC: 0B09090E
	v_mul_f32_e32 v133, v14, v133                              // 000000003EF0: 0B0B0B0E
	v_mul_f32_e32 v134, v14, v134                              // 000000003EF4: 0B0D0D0E
	v_mul_f32_e32 v135, v14, v135                              // 000000003EF8: 0B0F0F0E
	v_mul_f32_dpp v132, v15, v132 row_newbcast:0 row_mask:0xf bank_mask:0xf// 000000003EFC: 0B0908FA FF01500F
	v_mul_f32_dpp v133, v15, v133 row_newbcast:1 row_mask:0xf bank_mask:0xf// 000000003F04: 0B0B0AFA FF01510F
	v_mul_f32_dpp v134, v15, v134 row_newbcast:2 row_mask:0xf bank_mask:0xf// 000000003F0C: 0B0D0CFA FF01520F
	v_mul_f32_dpp v135, v15, v135 row_newbcast:3 row_mask:0xf bank_mask:0xf// 000000003F14: 0B0F0EFA FF01530F
	v_cvt_f32_i32_e32 v136, v136                               // 000000003F1C: 7F100B88
	v_cvt_f32_i32_e32 v137, v137                               // 000000003F20: 7F120B89
	v_cvt_f32_i32_e32 v138, v138                               // 000000003F24: 7F140B8A
	v_cvt_f32_i32_e32 v139, v139                               // 000000003F28: 7F160B8B
	v_mul_f32_e32 v136, v13, v136                              // 000000003F2C: 0B11110D
	v_mul_f32_e32 v137, v13, v137                              // 000000003F30: 0B13130D
	v_mul_f32_e32 v138, v13, v138                              // 000000003F34: 0B15150D
	v_mul_f32_e32 v139, v13, v139                              // 000000003F38: 0B17170D
	v_mul_f32_dpp v136, v15, v136 row_newbcast:4 row_mask:0xf bank_mask:0xf// 000000003F3C: 0B1110FA FF01540F
	v_mul_f32_dpp v137, v15, v137 row_newbcast:5 row_mask:0xf bank_mask:0xf// 000000003F44: 0B1312FA FF01550F
	v_mul_f32_dpp v138, v15, v138 row_newbcast:6 row_mask:0xf bank_mask:0xf// 000000003F4C: 0B1514FA FF01560F
	v_mul_f32_dpp v139, v15, v139 row_newbcast:7 row_mask:0xf bank_mask:0xf// 000000003F54: 0B1716FA FF01570F
	v_cvt_f32_i32_e32 v140, v140                               // 000000003F5C: 7F180B8C
	v_cvt_f32_i32_e32 v141, v141                               // 000000003F60: 7F1A0B8D
	v_cvt_f32_i32_e32 v142, v142                               // 000000003F64: 7F1C0B8E
	v_cvt_f32_i32_e32 v143, v143                               // 000000003F68: 7F1E0B8F
	v_mul_f32_e32 v140, v14, v140                              // 000000003F6C: 0B19190E
	v_mul_f32_e32 v141, v14, v141                              // 000000003F70: 0B1B1B0E
	v_mul_f32_e32 v142, v14, v142                              // 000000003F74: 0B1D1D0E
	v_mul_f32_e32 v143, v14, v143                              // 000000003F78: 0B1F1F0E
	v_mul_f32_dpp v140, v15, v140 row_newbcast:4 row_mask:0xf bank_mask:0xf// 000000003F7C: 0B1918FA FF01540F
	v_mul_f32_dpp v141, v15, v141 row_newbcast:5 row_mask:0xf bank_mask:0xf// 000000003F84: 0B1B1AFA FF01550F
	v_mul_f32_dpp v142, v15, v142 row_newbcast:6 row_mask:0xf bank_mask:0xf// 000000003F8C: 0B1D1CFA FF01560F
	v_mul_f32_dpp v143, v15, v143 row_newbcast:7 row_mask:0xf bank_mask:0xf// 000000003F94: 0B1F1EFA FF01570F
	v_cvt_f32_i32_e32 v144, v144                               // 000000003F9C: 7F200B90
	v_cvt_f32_i32_e32 v145, v145                               // 000000003FA0: 7F220B91
	v_cvt_f32_i32_e32 v146, v146                               // 000000003FA4: 7F240B92
	v_cvt_f32_i32_e32 v147, v147                               // 000000003FA8: 7F260B93
	v_mul_f32_e32 v144, v13, v144                              // 000000003FAC: 0B21210D
	v_mul_f32_e32 v145, v13, v145                              // 000000003FB0: 0B23230D
	v_mul_f32_e32 v146, v13, v146                              // 000000003FB4: 0B25250D
	v_mul_f32_e32 v147, v13, v147                              // 000000003FB8: 0B27270D
	v_mul_f32_dpp v144, v15, v144 row_newbcast:8 row_mask:0xf bank_mask:0xf// 000000003FBC: 0B2120FA FF01580F
	v_mul_f32_dpp v145, v15, v145 row_newbcast:9 row_mask:0xf bank_mask:0xf// 000000003FC4: 0B2322FA FF01590F
	v_mul_f32_dpp v146, v15, v146 row_newbcast:10 row_mask:0xf bank_mask:0xf// 000000003FCC: 0B2524FA FF015A0F
	v_mul_f32_dpp v147, v15, v147 row_newbcast:11 row_mask:0xf bank_mask:0xf// 000000003FD4: 0B2726FA FF015B0F
	v_cvt_f32_i32_e32 v148, v148                               // 000000003FDC: 7F280B94
	v_cvt_f32_i32_e32 v149, v149                               // 000000003FE0: 7F2A0B95
	v_cvt_f32_i32_e32 v150, v150                               // 000000003FE4: 7F2C0B96
	v_cvt_f32_i32_e32 v151, v151                               // 000000003FE8: 7F2E0B97
	v_mul_f32_e32 v148, v14, v148                              // 000000003FEC: 0B29290E
	v_mul_f32_e32 v149, v14, v149                              // 000000003FF0: 0B2B2B0E
	v_mul_f32_e32 v150, v14, v150                              // 000000003FF4: 0B2D2D0E
	v_mul_f32_e32 v151, v14, v151                              // 000000003FF8: 0B2F2F0E
	v_mul_f32_dpp v148, v15, v148 row_newbcast:8 row_mask:0xf bank_mask:0xf// 000000003FFC: 0B2928FA FF01580F
	v_mul_f32_dpp v149, v15, v149 row_newbcast:9 row_mask:0xf bank_mask:0xf// 000000004004: 0B2B2AFA FF01590F
	v_mul_f32_dpp v150, v15, v150 row_newbcast:10 row_mask:0xf bank_mask:0xf// 00000000400C: 0B2D2CFA FF015A0F
	v_mul_f32_dpp v151, v15, v151 row_newbcast:11 row_mask:0xf bank_mask:0xf// 000000004014: 0B2F2EFA FF015B0F
	s_waitcnt vmcnt(8)                                         // 00000000401C: BF8C0F78
	buffer_load_dwordx4 a[0:3], v35, s[12:15], 0 offen         // 000000004020: E05C1000 80830023
	v_mul_f32_e32 v44, v128, v128                              // 000000004028: 0A590180
	v_mul_f32_e32 v45, v129, v129                              // 00000000402C: 0A5B0381
	v_mul_f32_e32 v46, v130, v130                              // 000000004030: 0A5D0582
	v_mul_f32_e32 v47, v131, v131                              // 000000004034: 0A5F0783
	v_fma_f32 v44, v44, s77, v1                                // 000000004038: D1CB002C 04049B2C
	v_fma_f32 v45, v45, s77, v1                                // 000000004040: D1CB002D 04049B2D
	v_fma_f32 v46, v46, s77, v1                                // 000000004048: D1CB002E 04049B2E
	v_fma_f32 v47, v47, s77, v1                                // 000000004050: D1CB002F 04049B2F
	v_mul_f32_e32 v44, v44, v128                               // 000000004058: 0A59012C
	v_mul_f32_e32 v45, v45, v129                               // 00000000405C: 0A5B032D
	v_mul_f32_e32 v46, v46, v130                               // 000000004060: 0A5D052E
	v_mul_f32_e32 v47, v47, v131                               // 000000004064: 0A5F072F
	v_mul_f32_e64 v44, v44, s6                                 // 000000004068: D105002C 00000D2C
	v_mul_f32_e64 v45, v45, s6                                 // 000000004070: D105002D 00000D2D
	v_mul_f32_e64 v46, v46, s6                                 // 000000004078: D105002E 00000D2E
	v_mul_f32_e64 v47, v47, s6                                 // 000000004080: D105002F 00000D2F
	v_exp_f32_e32 v44, v44                                     // 000000004088: 7E58412C
	v_exp_f32_e32 v45, v45                                     // 00000000408C: 7E5A412D
	v_exp_f32_e32 v46, v46                                     // 000000004090: 7E5C412E
	v_exp_f32_e32 v47, v47                                     // 000000004094: 7E5E412F
	buffer_load_dwordx4 a[4:7], v36, s[12:15], 0 offen         // 000000004098: E05C1000 80830424
	v_add_f32_e64 v44, v44, 1.0                                // 0000000040A0: D101002C 0001E52C
	v_add_f32_e64 v45, v45, 1.0                                // 0000000040A8: D101002D 0001E52D
	v_add_f32_e64 v46, v46, 1.0                                // 0000000040B0: D101002E 0001E52E
	v_add_f32_e64 v47, v47, 1.0                                // 0000000040B8: D101002F 0001E52F
	v_rcp_f32_e32 v44, v44                                     // 0000000040C0: 7E58452C
	v_rcp_f32_e32 v45, v45                                     // 0000000040C4: 7E5A452D
	v_rcp_f32_e32 v46, v46                                     // 0000000040C8: 7E5C452E
	v_rcp_f32_e32 v47, v47                                     // 0000000040CC: 7E5E452F
	v_mul_f32_e32 v128, v128, v44                              // 0000000040D0: 0B005980
	v_mul_f32_e32 v129, v129, v45                              // 0000000040D4: 0B025B81
	v_mul_f32_e32 v130, v130, v46                              // 0000000040D8: 0B045D82
	v_mul_f32_e32 v131, v131, v47                              // 0000000040DC: 0B065F83
	buffer_load_dwordx4 a[8:11], v37, s[12:15], 0 offen        // 0000000040E0: E05C1000 80830825
	v_mul_f32_e32 v44, v132, v132                              // 0000000040E8: 0A590984
	v_mul_f32_e32 v45, v133, v133                              // 0000000040EC: 0A5B0B85
	v_mul_f32_e32 v46, v134, v134                              // 0000000040F0: 0A5D0D86
	v_mul_f32_e32 v47, v135, v135                              // 0000000040F4: 0A5F0F87
	v_fma_f32 v44, v44, s77, v1                                // 0000000040F8: D1CB002C 04049B2C
	v_fma_f32 v45, v45, s77, v1                                // 000000004100: D1CB002D 04049B2D
	v_fma_f32 v46, v46, s77, v1                                // 000000004108: D1CB002E 04049B2E
	v_fma_f32 v47, v47, s77, v1                                // 000000004110: D1CB002F 04049B2F
	v_mul_f32_e32 v44, v44, v132                               // 000000004118: 0A59092C
	v_mul_f32_e32 v45, v45, v133                               // 00000000411C: 0A5B0B2D
	v_mul_f32_e32 v46, v46, v134                               // 000000004120: 0A5D0D2E
	v_mul_f32_e32 v47, v47, v135                               // 000000004124: 0A5F0F2F
	v_mul_f32_e64 v44, v44, s6                                 // 000000004128: D105002C 00000D2C
	v_mul_f32_e64 v45, v45, s6                                 // 000000004130: D105002D 00000D2D
	v_mul_f32_e64 v46, v46, s6                                 // 000000004138: D105002E 00000D2E
	v_mul_f32_e64 v47, v47, s6                                 // 000000004140: D105002F 00000D2F
	v_exp_f32_e32 v44, v44                                     // 000000004148: 7E58412C
	v_exp_f32_e32 v45, v45                                     // 00000000414C: 7E5A412D
	v_exp_f32_e32 v46, v46                                     // 000000004150: 7E5C412E
	v_exp_f32_e32 v47, v47                                     // 000000004154: 7E5E412F
	buffer_load_dwordx4 a[12:15], v38, s[12:15], 0 offen       // 000000004158: E05C1000 80830C26
	s_add_u32 s12, s78, s12                                    // 000000004160: 800C0C4E
	s_addc_u32 s13, 0, s13                                     // 000000004164: 820D0D80
	v_add_f32_e64 v44, v44, 1.0                                // 000000004168: D101002C 0001E52C
	v_add_f32_e64 v45, v45, 1.0                                // 000000004170: D101002D 0001E52D
	v_add_f32_e64 v46, v46, 1.0                                // 000000004178: D101002E 0001E52E
	v_add_f32_e64 v47, v47, 1.0                                // 000000004180: D101002F 0001E52F
	v_rcp_f32_e32 v44, v44                                     // 000000004188: 7E58452C
	v_rcp_f32_e32 v45, v45                                     // 00000000418C: 7E5A452D
	v_rcp_f32_e32 v46, v46                                     // 000000004190: 7E5C452E
	v_rcp_f32_e32 v47, v47                                     // 000000004194: 7E5E452F
	v_mul_f32_e32 v132, v132, v44                              // 000000004198: 0B085984
	v_mul_f32_e32 v133, v133, v45                              // 00000000419C: 0B0A5B85
	v_mul_f32_e32 v134, v134, v46                              // 0000000041A0: 0B0C5D86
	v_mul_f32_e32 v135, v135, v47                              // 0000000041A4: 0B0E5F87
	s_waitcnt vmcnt(8)                                         // 0000000041A8: BF8C0F78
	buffer_load_dwordx4 a[16:19], v35, s[12:15], 0 offen       // 0000000041AC: E05C1000 80831023
	v_mul_f32_e32 v44, v136, v136                              // 0000000041B4: 0A591188
	v_mul_f32_e32 v45, v137, v137                              // 0000000041B8: 0A5B1389
	v_mul_f32_e32 v46, v138, v138                              // 0000000041BC: 0A5D158A
	v_mul_f32_e32 v47, v139, v139                              // 0000000041C0: 0A5F178B
	v_fma_f32 v44, v44, s77, v1                                // 0000000041C4: D1CB002C 04049B2C
	v_fma_f32 v45, v45, s77, v1                                // 0000000041CC: D1CB002D 04049B2D
	v_fma_f32 v46, v46, s77, v1                                // 0000000041D4: D1CB002E 04049B2E
	v_fma_f32 v47, v47, s77, v1                                // 0000000041DC: D1CB002F 04049B2F
	v_mul_f32_e32 v44, v44, v136                               // 0000000041E4: 0A59112C
	v_mul_f32_e32 v45, v45, v137                               // 0000000041E8: 0A5B132D
	v_mul_f32_e32 v46, v46, v138                               // 0000000041EC: 0A5D152E
	v_mul_f32_e32 v47, v47, v139                               // 0000000041F0: 0A5F172F
	v_mul_f32_e64 v44, v44, s6                                 // 0000000041F4: D105002C 00000D2C
	v_mul_f32_e64 v45, v45, s6                                 // 0000000041FC: D105002D 00000D2D
	v_mul_f32_e64 v46, v46, s6                                 // 000000004204: D105002E 00000D2E
	v_mul_f32_e64 v47, v47, s6                                 // 00000000420C: D105002F 00000D2F
	v_exp_f32_e32 v44, v44                                     // 000000004214: 7E58412C
	v_exp_f32_e32 v45, v45                                     // 000000004218: 7E5A412D
	v_exp_f32_e32 v46, v46                                     // 00000000421C: 7E5C412E
	v_exp_f32_e32 v47, v47                                     // 000000004220: 7E5E412F
	buffer_load_dwordx4 a[20:23], v36, s[12:15], 0 offen       // 000000004224: E05C1000 80831424
	v_add_f32_e64 v44, v44, 1.0                                // 00000000422C: D101002C 0001E52C
	v_add_f32_e64 v45, v45, 1.0                                // 000000004234: D101002D 0001E52D
	v_add_f32_e64 v46, v46, 1.0                                // 00000000423C: D101002E 0001E52E
	v_add_f32_e64 v47, v47, 1.0                                // 000000004244: D101002F 0001E52F
	v_rcp_f32_e32 v44, v44                                     // 00000000424C: 7E58452C
	v_rcp_f32_e32 v45, v45                                     // 000000004250: 7E5A452D
	v_rcp_f32_e32 v46, v46                                     // 000000004254: 7E5C452E
	v_rcp_f32_e32 v47, v47                                     // 000000004258: 7E5E452F
	v_mul_f32_e32 v136, v136, v44                              // 00000000425C: 0B105988
	v_mul_f32_e32 v137, v137, v45                              // 000000004260: 0B125B89
	v_mul_f32_e32 v138, v138, v46                              // 000000004264: 0B145D8A
	v_mul_f32_e32 v139, v139, v47                              // 000000004268: 0B165F8B
	buffer_load_dwordx4 a[24:27], v37, s[12:15], 0 offen       // 00000000426C: E05C1000 80831825
	v_mul_f32_e32 v44, v140, v140                              // 000000004274: 0A59198C
	v_mul_f32_e32 v45, v141, v141                              // 000000004278: 0A5B1B8D
	v_mul_f32_e32 v46, v142, v142                              // 00000000427C: 0A5D1D8E
	v_mul_f32_e32 v47, v143, v143                              // 000000004280: 0A5F1F8F
	v_fma_f32 v44, v44, s77, v1                                // 000000004284: D1CB002C 04049B2C
	v_fma_f32 v45, v45, s77, v1                                // 00000000428C: D1CB002D 04049B2D
	v_fma_f32 v46, v46, s77, v1                                // 000000004294: D1CB002E 04049B2E
	v_fma_f32 v47, v47, s77, v1                                // 00000000429C: D1CB002F 04049B2F
	v_mul_f32_e32 v44, v44, v140                               // 0000000042A4: 0A59192C
	v_mul_f32_e32 v45, v45, v141                               // 0000000042A8: 0A5B1B2D
	v_mul_f32_e32 v46, v46, v142                               // 0000000042AC: 0A5D1D2E
	v_mul_f32_e32 v47, v47, v143                               // 0000000042B0: 0A5F1F2F
	v_mul_f32_e64 v44, v44, s6                                 // 0000000042B4: D105002C 00000D2C
	v_mul_f32_e64 v45, v45, s6                                 // 0000000042BC: D105002D 00000D2D
	v_mul_f32_e64 v46, v46, s6                                 // 0000000042C4: D105002E 00000D2E
	v_mul_f32_e64 v47, v47, s6                                 // 0000000042CC: D105002F 00000D2F
	v_exp_f32_e32 v44, v44                                     // 0000000042D4: 7E58412C
	v_exp_f32_e32 v45, v45                                     // 0000000042D8: 7E5A412D
	v_exp_f32_e32 v46, v46                                     // 0000000042DC: 7E5C412E
	v_exp_f32_e32 v47, v47                                     // 0000000042E0: 7E5E412F
	buffer_load_dwordx4 a[28:31], v38, s[12:15], 0 offen       // 0000000042E4: E05C1000 80831C26
	s_add_u32 s12, s78, s12                                    // 0000000042EC: 800C0C4E
	s_addc_u32 s13, 0, s13                                     // 0000000042F0: 820D0D80
	v_add_f32_e64 v44, v44, 1.0                                // 0000000042F4: D101002C 0001E52C
	v_add_f32_e64 v45, v45, 1.0                                // 0000000042FC: D101002D 0001E52D
	v_add_f32_e64 v46, v46, 1.0                                // 000000004304: D101002E 0001E52E
	v_add_f32_e64 v47, v47, 1.0                                // 00000000430C: D101002F 0001E52F
	v_rcp_f32_e32 v44, v44                                     // 000000004314: 7E58452C
	v_rcp_f32_e32 v45, v45                                     // 000000004318: 7E5A452D
	v_rcp_f32_e32 v46, v46                                     // 00000000431C: 7E5C452E
	v_rcp_f32_e32 v47, v47                                     // 000000004320: 7E5E452F
	v_mul_f32_e32 v140, v140, v44                              // 000000004324: 0B18598C
	v_mul_f32_e32 v141, v141, v45                              // 000000004328: 0B1A5B8D
	v_mul_f32_e32 v142, v142, v46                              // 00000000432C: 0B1C5D8E
	v_mul_f32_e32 v143, v143, v47                              // 000000004330: 0B1E5F8F
	s_waitcnt vmcnt(8)                                         // 000000004334: BF8C0F78
	buffer_load_dwordx4 a[32:35], v35, s[12:15], 0 offen       // 000000004338: E05C1000 80832023
	v_mul_f32_e32 v44, v144, v144                              // 000000004340: 0A592190
	v_mul_f32_e32 v45, v145, v145                              // 000000004344: 0A5B2391
	v_mul_f32_e32 v46, v146, v146                              // 000000004348: 0A5D2592
	v_mul_f32_e32 v47, v147, v147                              // 00000000434C: 0A5F2793
	v_fma_f32 v44, v44, s77, v1                                // 000000004350: D1CB002C 04049B2C
	v_fma_f32 v45, v45, s77, v1                                // 000000004358: D1CB002D 04049B2D
	v_fma_f32 v46, v46, s77, v1                                // 000000004360: D1CB002E 04049B2E
	v_fma_f32 v47, v47, s77, v1                                // 000000004368: D1CB002F 04049B2F
	v_mul_f32_e32 v44, v44, v144                               // 000000004370: 0A59212C
	v_mul_f32_e32 v45, v45, v145                               // 000000004374: 0A5B232D
	v_mul_f32_e32 v46, v46, v146                               // 000000004378: 0A5D252E
	v_mul_f32_e32 v47, v47, v147                               // 00000000437C: 0A5F272F
	v_mul_f32_e64 v44, v44, s6                                 // 000000004380: D105002C 00000D2C
	v_mul_f32_e64 v45, v45, s6                                 // 000000004388: D105002D 00000D2D
	v_mul_f32_e64 v46, v46, s6                                 // 000000004390: D105002E 00000D2E
	v_mul_f32_e64 v47, v47, s6                                 // 000000004398: D105002F 00000D2F
	v_exp_f32_e32 v44, v44                                     // 0000000043A0: 7E58412C
	v_exp_f32_e32 v45, v45                                     // 0000000043A4: 7E5A412D
	v_exp_f32_e32 v46, v46                                     // 0000000043A8: 7E5C412E
	v_exp_f32_e32 v47, v47                                     // 0000000043AC: 7E5E412F
	buffer_load_dwordx4 a[36:39], v36, s[12:15], 0 offen       // 0000000043B0: E05C1000 80832424
	v_add_f32_e64 v44, v44, 1.0                                // 0000000043B8: D101002C 0001E52C
	v_add_f32_e64 v45, v45, 1.0                                // 0000000043C0: D101002D 0001E52D
	v_add_f32_e64 v46, v46, 1.0                                // 0000000043C8: D101002E 0001E52E
	v_add_f32_e64 v47, v47, 1.0                                // 0000000043D0: D101002F 0001E52F
	v_rcp_f32_e32 v44, v44                                     // 0000000043D8: 7E58452C
	v_rcp_f32_e32 v45, v45                                     // 0000000043DC: 7E5A452D
	v_rcp_f32_e32 v46, v46                                     // 0000000043E0: 7E5C452E
	v_rcp_f32_e32 v47, v47                                     // 0000000043E4: 7E5E452F
	v_mul_f32_e32 v144, v144, v44                              // 0000000043E8: 0B205990
	v_mul_f32_e32 v145, v145, v45                              // 0000000043EC: 0B225B91
	v_mul_f32_e32 v146, v146, v46                              // 0000000043F0: 0B245D92
	v_mul_f32_e32 v147, v147, v47                              // 0000000043F4: 0B265F93
	buffer_load_dwordx4 a[40:43], v37, s[12:15], 0 offen       // 0000000043F8: E05C1000 80832825
	v_mul_f32_e32 v44, v148, v148                              // 000000004400: 0A592994
	v_mul_f32_e32 v45, v149, v149                              // 000000004404: 0A5B2B95
	v_mul_f32_e32 v46, v150, v150                              // 000000004408: 0A5D2D96
	v_mul_f32_e32 v47, v151, v151                              // 00000000440C: 0A5F2F97
	v_fma_f32 v44, v44, s77, v1                                // 000000004410: D1CB002C 04049B2C
	v_fma_f32 v45, v45, s77, v1                                // 000000004418: D1CB002D 04049B2D
	v_fma_f32 v46, v46, s77, v1                                // 000000004420: D1CB002E 04049B2E
	v_fma_f32 v47, v47, s77, v1                                // 000000004428: D1CB002F 04049B2F
	v_mul_f32_e32 v44, v44, v148                               // 000000004430: 0A59292C
	v_mul_f32_e32 v45, v45, v149                               // 000000004434: 0A5B2B2D
	v_mul_f32_e32 v46, v46, v150                               // 000000004438: 0A5D2D2E
	v_mul_f32_e32 v47, v47, v151                               // 00000000443C: 0A5F2F2F
	v_mul_f32_e64 v44, v44, s6                                 // 000000004440: D105002C 00000D2C
	v_mul_f32_e64 v45, v45, s6                                 // 000000004448: D105002D 00000D2D
	v_mul_f32_e64 v46, v46, s6                                 // 000000004450: D105002E 00000D2E
	v_mul_f32_e64 v47, v47, s6                                 // 000000004458: D105002F 00000D2F
	v_exp_f32_e32 v44, v44                                     // 000000004460: 7E58412C
	v_exp_f32_e32 v45, v45                                     // 000000004464: 7E5A412D
	v_exp_f32_e32 v46, v46                                     // 000000004468: 7E5C412E
	v_exp_f32_e32 v47, v47                                     // 00000000446C: 7E5E412F
	buffer_load_dwordx4 a[44:47], v38, s[12:15], 0 offen       // 000000004470: E05C1000 80832C26
	v_add_f32_e64 v44, v44, 1.0                                // 000000004478: D101002C 0001E52C
	v_add_f32_e64 v45, v45, 1.0                                // 000000004480: D101002D 0001E52D
	v_add_f32_e64 v46, v46, 1.0                                // 000000004488: D101002E 0001E52E
	v_add_f32_e64 v47, v47, 1.0                                // 000000004490: D101002F 0001E52F
	v_rcp_f32_e32 v44, v44                                     // 000000004498: 7E58452C
	v_rcp_f32_e32 v45, v45                                     // 00000000449C: 7E5A452D
	v_rcp_f32_e32 v46, v46                                     // 0000000044A0: 7E5C452E
	v_rcp_f32_e32 v47, v47                                     // 0000000044A4: 7E5E452F
	v_mul_f32_e32 v148, v148, v44                              // 0000000044A8: 0B285994
	v_mul_f32_e32 v149, v149, v45                              // 0000000044AC: 0B2A5B95
	v_mul_f32_e32 v150, v150, v46                              // 0000000044B0: 0B2C5D96
	v_mul_f32_e32 v151, v151, v47                              // 0000000044B4: 0B2E5F97
	v_mul_f32_dpp v128, v16, v128 row_newbcast:0 row_mask:0xf bank_mask:0xf// 0000000044B8: 0B0100FA FF015010
	v_mul_f32_dpp v129, v16, v129 row_newbcast:1 row_mask:0xf bank_mask:0xf// 0000000044C0: 0B0302FA FF015110
	v_mul_f32_dpp v130, v16, v130 row_newbcast:2 row_mask:0xf bank_mask:0xf// 0000000044C8: 0B0504FA FF015210
	v_mul_f32_dpp v131, v16, v131 row_newbcast:3 row_mask:0xf bank_mask:0xf// 0000000044D0: 0B0706FA FF015310
	v_mul_f32_dpp v132, v16, v132 row_newbcast:0 row_mask:0xf bank_mask:0xf// 0000000044D8: 0B0908FA FF015010
	v_mul_f32_dpp v133, v16, v133 row_newbcast:1 row_mask:0xf bank_mask:0xf// 0000000044E0: 0B0B0AFA FF015110
	v_mul_f32_dpp v134, v16, v134 row_newbcast:2 row_mask:0xf bank_mask:0xf// 0000000044E8: 0B0D0CFA FF015210
	v_mul_f32_dpp v135, v16, v135 row_newbcast:3 row_mask:0xf bank_mask:0xf// 0000000044F0: 0B0F0EFA FF015310
	v_mul_f32_dpp v136, v16, v136 row_newbcast:4 row_mask:0xf bank_mask:0xf// 0000000044F8: 0B1110FA FF015410
	v_mul_f32_dpp v137, v16, v137 row_newbcast:5 row_mask:0xf bank_mask:0xf// 000000004500: 0B1312FA FF015510
	v_mul_f32_dpp v138, v16, v138 row_newbcast:6 row_mask:0xf bank_mask:0xf// 000000004508: 0B1514FA FF015610
	v_mul_f32_dpp v139, v16, v139 row_newbcast:7 row_mask:0xf bank_mask:0xf// 000000004510: 0B1716FA FF015710
	v_mul_f32_dpp v140, v16, v140 row_newbcast:4 row_mask:0xf bank_mask:0xf// 000000004518: 0B1918FA FF015410
	v_mul_f32_dpp v141, v16, v141 row_newbcast:5 row_mask:0xf bank_mask:0xf// 000000004520: 0B1B1AFA FF015510
	v_mul_f32_dpp v142, v16, v142 row_newbcast:6 row_mask:0xf bank_mask:0xf// 000000004528: 0B1D1CFA FF015610
	v_mul_f32_dpp v143, v16, v143 row_newbcast:7 row_mask:0xf bank_mask:0xf// 000000004530: 0B1F1EFA FF015710
	v_mul_f32_dpp v144, v16, v144 row_newbcast:8 row_mask:0xf bank_mask:0xf// 000000004538: 0B2120FA FF015810
	v_mul_f32_dpp v145, v16, v145 row_newbcast:9 row_mask:0xf bank_mask:0xf// 000000004540: 0B2322FA FF015910
	v_mul_f32_dpp v146, v16, v146 row_newbcast:10 row_mask:0xf bank_mask:0xf// 000000004548: 0B2524FA FF015A10
	v_mul_f32_dpp v147, v16, v147 row_newbcast:11 row_mask:0xf bank_mask:0xf// 000000004550: 0B2726FA FF015B10
	v_mul_f32_dpp v148, v16, v148 row_newbcast:8 row_mask:0xf bank_mask:0xf// 000000004558: 0B2928FA FF015810
	v_mul_f32_dpp v149, v16, v149 row_newbcast:9 row_mask:0xf bank_mask:0xf// 000000004560: 0B2B2AFA FF015910
	v_mul_f32_dpp v150, v16, v150 row_newbcast:10 row_mask:0xf bank_mask:0xf// 000000004568: 0B2D2CFA FF015A10
	v_mul_f32_dpp v151, v16, v151 row_newbcast:11 row_mask:0xf bank_mask:0xf// 000000004570: 0B2F2EFA FF015B10
	buffer_load_dword v11, v5, s[16:19], 0 offen               // 000000004578: E0501000 80040B05
	v_mov_b32_e32 v20, 0x358637bd                              // 000000004580: 7E2802FF 358637BD
	v_mov_b32_e32 v21, 0x358637bd                              // 000000004588: 7E2A02FF 358637BD
	v_max3_f32 v20, |v128|, |v129|, v20                        // 000000004590: D1D30314 04530380
	v_max3_f32 v20, |v130|, |v131|, v20                        // 000000004598: D1D30314 04530782
	v_max3_f32 v21, |v132|, |v133|, v21                        // 0000000045A0: D1D30315 04570B84
	v_max3_f32 v21, |v134|, |v135|, v21                        // 0000000045A8: D1D30315 04570F86
	v_max3_f32 v20, |v136|, |v137|, v20                        // 0000000045B0: D1D30314 04531388
	v_max3_f32 v20, |v138|, |v139|, v20                        // 0000000045B8: D1D30314 0453178A
	v_max3_f32 v21, |v140|, |v141|, v21                        // 0000000045C0: D1D30315 04571B8C
	v_max3_f32 v21, |v142|, |v143|, v21                        // 0000000045C8: D1D30315 04571F8E
	v_max3_f32 v20, |v144|, |v145|, v20                        // 0000000045D0: D1D30314 04532390
	v_max3_f32 v20, |v146|, |v147|, v20                        // 0000000045D8: D1D30314 04532792
	v_max3_f32 v21, |v148|, |v149|, v21                        // 0000000045E0: D1D30315 04572B94
	v_max3_f32 v21, |v150|, |v151|, v21                        // 0000000045E8: D1D30315 04572F96
	v_lshlrev_b32_e32 v44, 3, v0                               // 0000000045F0: 24580083
	s_mul_i32 s60, 0x200, s7                                   // 0000000045F4: 923C07FF 00000200
	v_add_u32_e32 v44, s60, v44                                // 0000000045FC: 6858583C
	ds_write_b64 v44, v[20:21] offset:16640                    // 000000004600: D89A4100 0000142C
	s_waitcnt lgkmcnt(0)                                       // 000000004608: BF8CC07F
	s_barrier                                                  // 00000000460C: BF8A0000
	v_and_b32_e32 v44, 15, v0                                  // 000000004610: 2658008F
	v_lshlrev_b32_e32 v44, 3, v44                              // 000000004614: 24585883
	ds_read_b64 v[96:97], v44 offset:16640                     // 000000004618: D8EC4100 6000002C
	ds_read_b64 v[98:99], v44 offset:16768                     // 000000004620: D8EC4180 6200002C
	ds_read_b64 v[100:101], v44 offset:16896                   // 000000004628: D8EC4200 6400002C
	ds_read_b64 v[102:103], v44 offset:17024                   // 000000004630: D8EC4280 6600002C
	ds_read_b64 v[104:105], v44 offset:17152                   // 000000004638: D8EC4300 6800002C
	ds_read_b64 v[106:107], v44 offset:17280                   // 000000004640: D8EC4380 6A00002C
	ds_read_b64 v[108:109], v44 offset:17408                   // 000000004648: D8EC4400 6C00002C
	ds_read_b64 v[110:111], v44 offset:17536                   // 000000004650: D8EC4480 6E00002C
	ds_read_b64 v[112:113], v44 offset:17664                   // 000000004658: D8EC4500 7000002C
	ds_read_b64 v[114:115], v44 offset:17792                   // 000000004660: D8EC4580 7200002C
	ds_read_b64 v[116:117], v44 offset:17920                   // 000000004668: D8EC4600 7400002C
	ds_read_b64 v[118:119], v44 offset:18048                   // 000000004670: D8EC4680 7600002C
	ds_read_b64 v[120:121], v44 offset:18176                   // 000000004678: D8EC4700 7800002C
	ds_read_b64 v[122:123], v44 offset:18304                   // 000000004680: D8EC4780 7A00002C
	ds_read_b64 v[124:125], v44 offset:18432                   // 000000004688: D8EC4800 7C00002C
	ds_read_b64 v[126:127], v44 offset:18560                   // 000000004690: D8EC4880 7E00002C
	s_waitcnt lgkmcnt(0)                                       // 000000004698: BF8CC07F
	v_max3_f32 v20, |v96|, |v98|, v20                          // 00000000469C: D1D30314 0452C560
	v_max3_f32 v21, |v97|, |v99|, v21                          // 0000000046A4: D1D30315 0456C761
	v_max3_f32 v20, |v100|, |v102|, v20                        // 0000000046AC: D1D30314 0452CD64
	v_max3_f32 v21, |v101|, |v103|, v21                        // 0000000046B4: D1D30315 0456CF65
	v_max3_f32 v20, |v104|, |v106|, v20                        // 0000000046BC: D1D30314 0452D568
	v_max3_f32 v21, |v105|, |v107|, v21                        // 0000000046C4: D1D30315 0456D769
	v_max3_f32 v20, |v108|, |v110|, v20                        // 0000000046CC: D1D30314 0452DD6C
	v_max3_f32 v21, |v109|, |v111|, v21                        // 0000000046D4: D1D30315 0456DF6D
	v_max3_f32 v20, |v112|, |v114|, v20                        // 0000000046DC: D1D30314 0452E570
	v_max3_f32 v21, |v113|, |v115|, v21                        // 0000000046E4: D1D30315 0456E771
	v_max3_f32 v20, |v116|, |v118|, v20                        // 0000000046EC: D1D30314 0452ED74
	v_max3_f32 v21, |v117|, |v119|, v21                        // 0000000046F4: D1D30315 0456EF75
	v_max3_f32 v20, |v120|, |v122|, v20                        // 0000000046FC: D1D30314 0452F578
	v_max3_f32 v21, |v121|, |v123|, v21                        // 000000004704: D1D30315 0456F779
	v_max3_f32 v20, |v124|, |v126|, v20                        // 00000000470C: D1D30314 0452FD7C
	v_max3_f32 v21, |v125|, |v127|, v21                        // 000000004714: D1D30315 0456FF7D
	v_rcp_f32_e32 v20, v20                                     // 00000000471C: 7E284514
	v_rcp_f32_e32 v21, v21                                     // 000000004720: 7E2A4515
	v_mul_f32_e32 v20, 0x42fe0000, v20                         // 000000004724: 0A2828FF 42FE0000
	v_mul_f32_e32 v21, 0x42fe0000, v21                         // 00000000472C: 0A2A2AFF 42FE0000
	v_mul_f32_e32 v128, v20, v128                              // 000000004734: 0B010114
	v_mul_f32_e32 v129, v20, v129                              // 000000004738: 0B030314
	v_mul_f32_e32 v130, v20, v130                              // 00000000473C: 0B050514
	v_mul_f32_e32 v131, v20, v131                              // 000000004740: 0B070714
	v_cvt_i32_f32_e32 v128, v128                               // 000000004744: 7F001180
	v_cvt_i32_f32_e32 v129, v129                               // 000000004748: 7F021181
	v_cvt_i32_f32_e32 v130, v130                               // 00000000474C: 7F041182
	v_cvt_i32_f32_e32 v131, v131                               // 000000004750: 7F061183
	v_perm_b32 v128, v129, v128, s53                           // 000000004754: D1ED0080 00D70181
	v_perm_b32 v128, v130, v128, s54                           // 00000000475C: D1ED0080 00DB0182
	v_perm_b32 v128, v131, v128, s55                           // 000000004764: D1ED0080 00DF0183
	v_mul_f32_e32 v132, v21, v132                              // 00000000476C: 0B090915
	v_mul_f32_e32 v133, v21, v133                              // 000000004770: 0B0B0B15
	v_mul_f32_e32 v134, v21, v134                              // 000000004774: 0B0D0D15
	v_mul_f32_e32 v135, v21, v135                              // 000000004778: 0B0F0F15
	v_cvt_i32_f32_e32 v132, v132                               // 00000000477C: 7F081184
	v_cvt_i32_f32_e32 v133, v133                               // 000000004780: 7F0A1185
	v_cvt_i32_f32_e32 v134, v134                               // 000000004784: 7F0C1186
	v_cvt_i32_f32_e32 v135, v135                               // 000000004788: 7F0E1187
	v_perm_b32 v129, v133, v132, s53                           // 00000000478C: D1ED0081 00D70985
	v_perm_b32 v129, v134, v129, s54                           // 000000004794: D1ED0081 00DB0386
	v_perm_b32 v129, v135, v129, s55                           // 00000000479C: D1ED0081 00DF0387
	v_mul_f32_e32 v136, v20, v136                              // 0000000047A4: 0B111114
	v_mul_f32_e32 v137, v20, v137                              // 0000000047A8: 0B131314
	v_mul_f32_e32 v138, v20, v138                              // 0000000047AC: 0B151514
	v_mul_f32_e32 v139, v20, v139                              // 0000000047B0: 0B171714
	v_cvt_i32_f32_e32 v136, v136                               // 0000000047B4: 7F101188
	v_cvt_i32_f32_e32 v137, v137                               // 0000000047B8: 7F121189
	v_cvt_i32_f32_e32 v138, v138                               // 0000000047BC: 7F14118A
	v_cvt_i32_f32_e32 v139, v139                               // 0000000047C0: 7F16118B
	v_perm_b32 v130, v137, v136, s53                           // 0000000047C4: D1ED0082 00D71189
	v_perm_b32 v130, v138, v130, s54                           // 0000000047CC: D1ED0082 00DB058A
	v_perm_b32 v130, v139, v130, s55                           // 0000000047D4: D1ED0082 00DF058B
	v_mul_f32_e32 v140, v21, v140                              // 0000000047DC: 0B191915
	v_mul_f32_e32 v141, v21, v141                              // 0000000047E0: 0B1B1B15
	v_mul_f32_e32 v142, v21, v142                              // 0000000047E4: 0B1D1D15
	v_mul_f32_e32 v143, v21, v143                              // 0000000047E8: 0B1F1F15
	v_cvt_i32_f32_e32 v140, v140                               // 0000000047EC: 7F18118C
	v_cvt_i32_f32_e32 v141, v141                               // 0000000047F0: 7F1A118D
	v_cvt_i32_f32_e32 v142, v142                               // 0000000047F4: 7F1C118E
	v_cvt_i32_f32_e32 v143, v143                               // 0000000047F8: 7F1E118F
	v_perm_b32 v131, v141, v140, s53                           // 0000000047FC: D1ED0083 00D7198D
	v_perm_b32 v131, v142, v131, s54                           // 000000004804: D1ED0083 00DB078E
	v_perm_b32 v131, v143, v131, s55                           // 00000000480C: D1ED0083 00DF078F
	v_mul_f32_e32 v144, v20, v144                              // 000000004814: 0B212114
	v_mul_f32_e32 v145, v20, v145                              // 000000004818: 0B232314
	v_mul_f32_e32 v146, v20, v146                              // 00000000481C: 0B252514
	v_mul_f32_e32 v147, v20, v147                              // 000000004820: 0B272714
	v_cvt_i32_f32_e32 v144, v144                               // 000000004824: 7F201190
	v_cvt_i32_f32_e32 v145, v145                               // 000000004828: 7F221191
	v_cvt_i32_f32_e32 v146, v146                               // 00000000482C: 7F241192
	v_cvt_i32_f32_e32 v147, v147                               // 000000004830: 7F261193
	v_perm_b32 v132, v145, v144, s53                           // 000000004834: D1ED0084 00D72191
	v_perm_b32 v132, v146, v132, s54                           // 00000000483C: D1ED0084 00DB0992
	v_perm_b32 v132, v147, v132, s55                           // 000000004844: D1ED0084 00DF0993
	v_mul_f32_e32 v148, v21, v148                              // 00000000484C: 0B292915
	v_mul_f32_e32 v149, v21, v149                              // 000000004850: 0B2B2B15
	v_mul_f32_e32 v150, v21, v150                              // 000000004854: 0B2D2D15
	v_mul_f32_e32 v151, v21, v151                              // 000000004858: 0B2F2F15
	v_cvt_i32_f32_e32 v148, v148                               // 00000000485C: 7F281194
	v_cvt_i32_f32_e32 v149, v149                               // 000000004860: 7F2A1195
	v_cvt_i32_f32_e32 v150, v150                               // 000000004864: 7F2C1196
	v_cvt_i32_f32_e32 v151, v151                               // 000000004868: 7F2E1197
	v_perm_b32 v133, v149, v148, s53                           // 00000000486C: D1ED0085 00D72995
	v_perm_b32 v133, v150, v133, s54                           // 000000004874: D1ED0085 00DB0B96
	v_perm_b32 v133, v151, v133, s55                           // 00000000487C: D1ED0085 00DF0B97
	v_rcp_f32_e32 v22, v20                                     // 000000004884: 7E2C4514
	v_rcp_f32_e32 v23, v21                                     // 000000004888: 7E2E4515
	v_lshrrev_b32_e32 v44, 5, v0                               // 00000000488C: 20580085
	v_lshlrev_b32_e32 v45, 5, v44                              // 000000004890: 245A5885
	v_and_b32_e32 v44, 31, v0                                  // 000000004894: 2658009F
	v_lshrrev_b32_e32 v46, 4, v44                              // 000000004898: 205C5884
	v_add_u32_e32 v45, v46, v45                                // 00000000489C: 685A5B2E
	v_and_b32_e32 v44, 15, v0                                  // 0000000048A0: 2658008F
	v_lshlrev_b32_e32 v44, 1, v44                              // 0000000048A4: 24585881
	v_add_u32_e32 v45, v44, v45                                // 0000000048A8: 685A5B2C
	v_lshlrev_b32_e32 v44, 2, v45                              // 0000000048AC: 24585A82
	s_mul_i32 s60, 0x100, s7                                   // 0000000048B0: 923C07FF 00000100
	v_add_u32_e64 v44, v44, s60                                // 0000000048B8: D134002C 0000792C
	ds_write_b32 v44, v128 offset:18688                        // 0000000048C0: D81A4900 0000802C
	ds_write_b32 v44, v129 offset:21760                        // 0000000048C8: D81A5500 0000812C
	ds_write_b32 v44, v130 offset:19712                        // 0000000048D0: D81A4D00 0000822C
	ds_write_b32 v44, v131 offset:22784                        // 0000000048D8: D81A5900 0000832C
	ds_write_b32 v44, v132 offset:20736                        // 0000000048E0: D81A5100 0000842C
	ds_write_b32 v44, v133 offset:23808                        // 0000000048E8: D81A5D00 0000852C
	s_waitcnt lgkmcnt(0)                                       // 0000000048F0: BF8CC07F
	s_barrier                                                  // 0000000048F4: BF8A0000
	v_lshrrev_b32_e32 v44, 4, v0                               // 0000000048F8: 20580084
	v_lshlrev_b32_e32 v45, 6, v44                              // 0000000048FC: 245A5886
	v_and_b32_e32 v44, 15, v0                                  // 000000004900: 2658008F
	v_lshlrev_b32_e32 v44, 1, v44                              // 000000004904: 24585881
	v_add_u32_e32 v45, v44, v45                                // 000000004908: 685A5B2C
	v_lshlrev_b32_e32 v44, 2, v45                              // 00000000490C: 24585A82
	ds_read_b64 v[128:129], v44 offset:18688                   // 000000004910: D8EC4900 8000002C
	ds_read_b64 v[130:131], v44 offset:18816                   // 000000004918: D8EC4980 8200002C
	ds_read_b64 v[132:133], v44 offset:19712                   // 000000004920: D8EC4D00 8400002C
	ds_read_b64 v[134:135], v44 offset:19840                   // 000000004928: D8EC4D80 8600002C
	ds_read_b64 v[136:137], v44 offset:20736                   // 000000004930: D8EC5100 8800002C
	ds_read_b64 v[138:139], v44 offset:20864                   // 000000004938: D8EC5180 8A00002C
	ds_read_b64 v[140:141], v44 offset:21760                   // 000000004940: D8EC5500 8C00002C
	ds_read_b64 v[142:143], v44 offset:21888                   // 000000004948: D8EC5580 8E00002C
	ds_read_b64 v[144:145], v44 offset:22784                   // 000000004950: D8EC5900 9000002C
	ds_read_b64 v[146:147], v44 offset:22912                   // 000000004958: D8EC5980 9200002C
	ds_read_b64 v[148:149], v44 offset:23808                   // 000000004960: D8EC5D00 9400002C
	ds_read_b64 v[150:151], v44 offset:23936                   // 000000004968: D8EC5D80 9600002C
	s_add_u32 s12, s56, s12                                    // 000000004970: 800C0C38
	s_addc_u32 s13, 0, s13                                     // 000000004974: 820D0D80
	s_add_u32 s16, s79, s16                                    // 000000004978: 8010104F
	s_addc_u32 s17, 0, s17                                     // 00000000497C: 82111180
	s_mov_b32 s80, 0                                           // 000000004980: BED00080
	s_waitcnt vmcnt(0) expcnt(0) lgkmcnt(0)                    // 000000004984: BF8C0000

0000000000004988 <label_06E2>:
	s_waitcnt vmcnt(25)                                        // 000000004988: BF8C4F79
	s_barrier                                                  // 00000000498C: BF8A0000
	v_mfma_i32_16x16x32_i8 v[152:155], a[0:1], v[128:129], 0   // 000000004990: D3D70098 0A030100
	v_mfma_i32_16x16x32_i8 v[152:155], a[2:3], v[130:131], v[152:155]// 000000004998: D3D70098 0E630502
	buffer_load_dwordx4 a[48:51], v35, s[12:15], 0 offen       // 0000000049A0: E05C1000 80833023
	v_mfma_i32_16x16x32_i8 v[156:159], a[0:1], v[140:141], 0   // 0000000049A8: D3D7009C 0A031900
	v_mfma_i32_16x16x32_i8 v[156:159], a[2:3], v[142:143], v[156:159]// 0000000049B0: D3D7009C 0E731D02
	v_mfma_i32_16x16x32_i8 v[160:163], a[4:5], v[128:129], 0   // 0000000049B8: D3D700A0 0A030104
	v_mfma_i32_16x16x32_i8 v[160:163], a[6:7], v[130:131], v[160:163]// 0000000049C0: D3D700A0 0E830506
	buffer_load_dwordx4 a[52:55], v36, s[12:15], 0 offen       // 0000000049C8: E05C1000 80833424
	v_mfma_i32_16x16x32_i8 v[164:167], a[4:5], v[140:141], 0   // 0000000049D0: D3D700A4 0A031904
	v_mfma_i32_16x16x32_i8 v[164:167], a[6:7], v[142:143], v[164:167]// 0000000049D8: D3D700A4 0E931D06
	v_mfma_i32_16x16x32_i8 v[168:171], a[8:9], v[128:129], 0   // 0000000049E0: D3D700A8 0A030108
	v_mfma_i32_16x16x32_i8 v[168:171], a[10:11], v[130:131], v[168:171]// 0000000049E8: D3D700A8 0EA3050A
	buffer_load_dwordx4 a[56:59], v37, s[12:15], 0 offen       // 0000000049F0: E05C1000 80833825
	v_mfma_i32_16x16x32_i8 v[172:175], a[8:9], v[140:141], 0   // 0000000049F8: D3D700AC 0A031908
	v_mfma_i32_16x16x32_i8 v[172:175], a[10:11], v[142:143], v[172:175]// 000000004A00: D3D700AC 0EB31D0A
	v_mfma_i32_16x16x32_i8 v[176:179], a[12:13], v[128:129], 0 // 000000004A08: D3D700B0 0A03010C
	v_mfma_i32_16x16x32_i8 v[176:179], a[14:15], v[130:131], v[176:179]// 000000004A10: D3D700B0 0EC3050E
	buffer_load_dwordx4 a[60:63], v38, s[12:15], 0 offen       // 000000004A18: E05C1000 80833C26
	s_add_u32 s12, s78, s12                                    // 000000004A20: 800C0C4E
	s_addc_u32 s13, 0, s13                                     // 000000004A24: 820D0D80
	v_mfma_i32_16x16x32_i8 v[180:183], a[12:13], v[140:141], 0 // 000000004A28: D3D700B4 0A03190C
	v_mfma_i32_16x16x32_i8 v[180:183], a[14:15], v[142:143], v[180:183]// 000000004A30: D3D700B4 0ED31D0E
	s_waitcnt vmcnt(25)                                        // 000000004A38: BF8C4F79
	v_mfma_i32_16x16x32_i8 v[152:155], a[16:17], v[132:133], v[152:155]// 000000004A3C: D3D70098 0E630910
	v_mfma_i32_16x16x32_i8 v[152:155], a[18:19], v[134:135], v[152:155]// 000000004A44: D3D70098 0E630D12
	buffer_load_dwordx4 a[64:67], v35, s[12:15], 0 offen       // 000000004A4C: E05C1000 80834023
	v_mfma_i32_16x16x32_i8 v[156:159], a[16:17], v[144:145], v[156:159]// 000000004A54: D3D7009C 0E732110
	v_mfma_i32_16x16x32_i8 v[156:159], a[18:19], v[146:147], v[156:159]// 000000004A5C: D3D7009C 0E732512
	v_mfma_i32_16x16x32_i8 v[160:163], a[20:21], v[132:133], v[160:163]// 000000004A64: D3D700A0 0E830914
	v_mfma_i32_16x16x32_i8 v[160:163], a[22:23], v[134:135], v[160:163]// 000000004A6C: D3D700A0 0E830D16
	buffer_load_dwordx4 a[68:71], v36, s[12:15], 0 offen       // 000000004A74: E05C1000 80834424
	v_mfma_i32_16x16x32_i8 v[164:167], a[20:21], v[144:145], v[164:167]// 000000004A7C: D3D700A4 0E932114
	v_mfma_i32_16x16x32_i8 v[164:167], a[22:23], v[146:147], v[164:167]// 000000004A84: D3D700A4 0E932516
	v_mfma_i32_16x16x32_i8 v[168:171], a[24:25], v[132:133], v[168:171]// 000000004A8C: D3D700A8 0EA30918
	v_mfma_i32_16x16x32_i8 v[168:171], a[26:27], v[134:135], v[168:171]// 000000004A94: D3D700A8 0EA30D1A
	buffer_load_dwordx4 a[72:75], v37, s[12:15], 0 offen       // 000000004A9C: E05C1000 80834825
	v_mfma_i32_16x16x32_i8 v[172:175], a[24:25], v[144:145], v[172:175]// 000000004AA4: D3D700AC 0EB32118
	v_mfma_i32_16x16x32_i8 v[172:175], a[26:27], v[146:147], v[172:175]// 000000004AAC: D3D700AC 0EB3251A
	v_mfma_i32_16x16x32_i8 v[176:179], a[28:29], v[132:133], v[176:179]// 000000004AB4: D3D700B0 0EC3091C
	v_mfma_i32_16x16x32_i8 v[176:179], a[30:31], v[134:135], v[176:179]// 000000004ABC: D3D700B0 0EC30D1E
	buffer_load_dwordx4 a[76:79], v38, s[12:15], 0 offen       // 000000004AC4: E05C1000 80834C26
	s_add_u32 s12, s78, s12                                    // 000000004ACC: 800C0C4E
	s_addc_u32 s13, 0, s13                                     // 000000004AD0: 820D0D80
	v_mfma_i32_16x16x32_i8 v[180:183], a[28:29], v[144:145], v[180:183]// 000000004AD4: D3D700B4 0ED3211C
	v_mfma_i32_16x16x32_i8 v[180:183], a[30:31], v[146:147], v[180:183]// 000000004ADC: D3D700B4 0ED3251E
	s_waitcnt vmcnt(24)                                        // 000000004AE4: BF8C4F78
	v_mfma_i32_16x16x32_i8 v[152:155], a[32:33], v[136:137], v[152:155]// 000000004AE8: D3D70098 0E631120
	v_mfma_i32_16x16x32_i8 v[152:155], a[34:35], v[138:139], v[152:155]// 000000004AF0: D3D70098 0E631522
	buffer_load_dwordx4 a[80:83], v35, s[12:15], 0 offen       // 000000004AF8: E05C1000 80835023
	v_mfma_i32_16x16x32_i8 v[156:159], a[32:33], v[148:149], v[156:159]// 000000004B00: D3D7009C 0E732920
	v_mfma_i32_16x16x32_i8 v[156:159], a[34:35], v[150:151], v[156:159]// 000000004B08: D3D7009C 0E732D22
	buffer_load_dword v12, v5, s[16:19], 0 offen               // 000000004B10: E0501000 80040C05
	v_mfma_i32_16x16x32_i8 v[160:163], a[36:37], v[136:137], v[160:163]// 000000004B18: D3D700A0 0E831124
	v_mfma_i32_16x16x32_i8 v[160:163], a[38:39], v[138:139], v[160:163]// 000000004B20: D3D700A0 0E831526
	buffer_load_dwordx4 a[84:87], v36, s[12:15], 0 offen       // 000000004B28: E05C1000 80835424
	v_mfma_i32_16x16x32_i8 v[164:167], a[36:37], v[148:149], v[164:167]// 000000004B30: D3D700A4 0E932924
	v_mfma_i32_16x16x32_i8 v[164:167], a[38:39], v[150:151], v[164:167]// 000000004B38: D3D700A4 0E932D26
	v_mfma_i32_16x16x32_i8 v[168:171], a[40:41], v[136:137], v[168:171]// 000000004B40: D3D700A8 0EA31128
	v_mfma_i32_16x16x32_i8 v[168:171], a[42:43], v[138:139], v[168:171]// 000000004B48: D3D700A8 0EA3152A
	buffer_load_dwordx4 a[88:91], v37, s[12:15], 0 offen       // 000000004B50: E05C1000 80835825
	v_mfma_i32_16x16x32_i8 v[172:175], a[40:41], v[148:149], v[172:175]// 000000004B58: D3D700AC 0EB32928
	v_mfma_i32_16x16x32_i8 v[172:175], a[42:43], v[150:151], v[172:175]// 000000004B60: D3D700AC 0EB32D2A
	v_mfma_i32_16x16x32_i8 v[176:179], a[44:45], v[136:137], v[176:179]// 000000004B68: D3D700B0 0EC3112C
	v_mfma_i32_16x16x32_i8 v[176:179], a[46:47], v[138:139], v[176:179]// 000000004B70: D3D700B0 0EC3152E
	buffer_load_dwordx4 a[92:95], v38, s[12:15], 0 offen       // 000000004B78: E05C1000 80835C26
	v_mfma_i32_16x16x32_i8 v[180:183], a[44:45], v[148:149], v[180:183]// 000000004B80: D3D700B4 0ED3292C
	v_mfma_i32_16x16x32_i8 v[180:183], a[46:47], v[150:151], v[180:183]// 000000004B88: D3D700B4 0ED32D2E
	s_add_u32 s60, 0x200, s80                                  // 000000004B90: 803C50FF 00000200
	s_cmp_lt_u32 s60, s81                                      // 000000004B98: BF0A513C
	s_cselect_b32 s56, s56, 0                                  // 000000004B9C: 85388038
	s_cselect_b32 s78, s78, 0                                  // 000000004BA0: 854E804E
	s_cselect_b32 s79, s79, 0                                  // 000000004BA4: 854F804F
	s_add_u32 s12, s56, s12                                    // 000000004BA8: 800C0C38
	s_addc_u32 s13, 0, s13                                     // 000000004BAC: 820D0D80
	s_add_u32 s16, s79, s16                                    // 000000004BB0: 8010104F
	s_addc_u32 s17, 0, s17                                     // 000000004BB4: 82111180
	v_cvt_f32_i32_e32 v152, v152                               // 000000004BB8: 7F300B98
	v_cvt_f32_i32_e32 v153, v153                               // 000000004BBC: 7F320B99
	v_cvt_f32_i32_e32 v154, v154                               // 000000004BC0: 7F340B9A
	v_cvt_f32_i32_e32 v155, v155                               // 000000004BC4: 7F360B9B
	v_mul_f32_e32 v152, v22, v152                              // 000000004BC8: 0B313116
	v_mul_f32_e32 v153, v22, v153                              // 000000004BCC: 0B333316
	v_mul_f32_e32 v154, v22, v154                              // 000000004BD0: 0B353516
	v_mul_f32_e32 v155, v22, v155                              // 000000004BD4: 0B373716
	v_mul_f32_dpp v152, v11, v152 row_newbcast:0 row_mask:0xf bank_mask:0xf// 000000004BD8: 0B3130FA FF01500B
	v_mul_f32_dpp v153, v11, v153 row_newbcast:1 row_mask:0xf bank_mask:0xf// 000000004BE0: 0B3332FA FF01510B
	v_mul_f32_dpp v154, v11, v154 row_newbcast:2 row_mask:0xf bank_mask:0xf// 000000004BE8: 0B3534FA FF01520B
	v_mul_f32_dpp v155, v11, v155 row_newbcast:3 row_mask:0xf bank_mask:0xf// 000000004BF0: 0B3736FA FF01530B
	v_mul_f32_e32 v152, v17, v152                              // 000000004BF8: 0B313111
	v_mul_f32_e32 v153, v17, v153                              // 000000004BFC: 0B333311
	v_mul_f32_e32 v154, v17, v154                              // 000000004C00: 0B353511
	v_mul_f32_e32 v155, v17, v155                              // 000000004C04: 0B373711
	v_cvt_f32_i32_e32 v156, v156                               // 000000004C08: 7F380B9C
	v_cvt_f32_i32_e32 v157, v157                               // 000000004C0C: 7F3A0B9D
	v_cvt_f32_i32_e32 v158, v158                               // 000000004C10: 7F3C0B9E
	v_cvt_f32_i32_e32 v159, v159                               // 000000004C14: 7F3E0B9F
	v_mul_f32_e32 v156, v23, v156                              // 000000004C18: 0B393917
	v_mul_f32_e32 v157, v23, v157                              // 000000004C1C: 0B3B3B17
	v_mul_f32_e32 v158, v23, v158                              // 000000004C20: 0B3D3D17
	v_mul_f32_e32 v159, v23, v159                              // 000000004C24: 0B3F3F17
	v_mul_f32_dpp v156, v11, v156 row_newbcast:0 row_mask:0xf bank_mask:0xf// 000000004C28: 0B3938FA FF01500B
	v_mul_f32_dpp v157, v11, v157 row_newbcast:1 row_mask:0xf bank_mask:0xf// 000000004C30: 0B3B3AFA FF01510B
	v_mul_f32_dpp v158, v11, v158 row_newbcast:2 row_mask:0xf bank_mask:0xf// 000000004C38: 0B3D3CFA FF01520B
	v_mul_f32_dpp v159, v11, v159 row_newbcast:3 row_mask:0xf bank_mask:0xf// 000000004C40: 0B3F3EFA FF01530B
	v_mul_f32_e32 v156, v18, v156                              // 000000004C48: 0B393912
	v_mul_f32_e32 v157, v18, v157                              // 000000004C4C: 0B3B3B12
	v_mul_f32_e32 v158, v18, v158                              // 000000004C50: 0B3D3D12
	v_mul_f32_e32 v159, v18, v159                              // 000000004C54: 0B3F3F12
	v_cvt_f32_i32_e32 v160, v160                               // 000000004C58: 7F400BA0
	v_cvt_f32_i32_e32 v161, v161                               // 000000004C5C: 7F420BA1
	v_cvt_f32_i32_e32 v162, v162                               // 000000004C60: 7F440BA2
	v_cvt_f32_i32_e32 v163, v163                               // 000000004C64: 7F460BA3
	v_mul_f32_e32 v160, v22, v160                              // 000000004C68: 0B414116
	v_mul_f32_e32 v161, v22, v161                              // 000000004C6C: 0B434316
	v_mul_f32_e32 v162, v22, v162                              // 000000004C70: 0B454516
	v_mul_f32_e32 v163, v22, v163                              // 000000004C74: 0B474716
	v_mul_f32_dpp v160, v11, v160 row_newbcast:4 row_mask:0xf bank_mask:0xf// 000000004C78: 0B4140FA FF01540B
	v_mul_f32_dpp v161, v11, v161 row_newbcast:5 row_mask:0xf bank_mask:0xf// 000000004C80: 0B4342FA FF01550B
	v_mul_f32_dpp v162, v11, v162 row_newbcast:6 row_mask:0xf bank_mask:0xf// 000000004C88: 0B4544FA FF01560B
	v_mul_f32_dpp v163, v11, v163 row_newbcast:7 row_mask:0xf bank_mask:0xf// 000000004C90: 0B4746FA FF01570B
	v_mul_f32_e32 v160, v17, v160                              // 000000004C98: 0B414111
	v_mul_f32_e32 v161, v17, v161                              // 000000004C9C: 0B434311
	v_mul_f32_e32 v162, v17, v162                              // 000000004CA0: 0B454511
	v_mul_f32_e32 v163, v17, v163                              // 000000004CA4: 0B474711
	v_cvt_f32_i32_e32 v164, v164                               // 000000004CA8: 7F480BA4
	v_cvt_f32_i32_e32 v165, v165                               // 000000004CAC: 7F4A0BA5
	v_cvt_f32_i32_e32 v166, v166                               // 000000004CB0: 7F4C0BA6
	v_cvt_f32_i32_e32 v167, v167                               // 000000004CB4: 7F4E0BA7
	v_mul_f32_e32 v164, v23, v164                              // 000000004CB8: 0B494917
	v_mul_f32_e32 v165, v23, v165                              // 000000004CBC: 0B4B4B17
	v_mul_f32_e32 v166, v23, v166                              // 000000004CC0: 0B4D4D17
	v_mul_f32_e32 v167, v23, v167                              // 000000004CC4: 0B4F4F17
	v_mul_f32_dpp v164, v11, v164 row_newbcast:4 row_mask:0xf bank_mask:0xf// 000000004CC8: 0B4948FA FF01540B
	v_mul_f32_dpp v165, v11, v165 row_newbcast:5 row_mask:0xf bank_mask:0xf// 000000004CD0: 0B4B4AFA FF01550B
	v_mul_f32_dpp v166, v11, v166 row_newbcast:6 row_mask:0xf bank_mask:0xf// 000000004CD8: 0B4D4CFA FF01560B
	v_mul_f32_dpp v167, v11, v167 row_newbcast:7 row_mask:0xf bank_mask:0xf// 000000004CE0: 0B4F4EFA FF01570B
	v_mul_f32_e32 v164, v18, v164                              // 000000004CE8: 0B494912
	v_mul_f32_e32 v165, v18, v165                              // 000000004CEC: 0B4B4B12
	v_mul_f32_e32 v166, v18, v166                              // 000000004CF0: 0B4D4D12
	v_mul_f32_e32 v167, v18, v167                              // 000000004CF4: 0B4F4F12
	v_cvt_f32_i32_e32 v168, v168                               // 000000004CF8: 7F500BA8
	v_cvt_f32_i32_e32 v169, v169                               // 000000004CFC: 7F520BA9
	v_cvt_f32_i32_e32 v170, v170                               // 000000004D00: 7F540BAA
	v_cvt_f32_i32_e32 v171, v171                               // 000000004D04: 7F560BAB
	v_mul_f32_e32 v168, v22, v168                              // 000000004D08: 0B515116
	v_mul_f32_e32 v169, v22, v169                              // 000000004D0C: 0B535316
	v_mul_f32_e32 v170, v22, v170                              // 000000004D10: 0B555516
	v_mul_f32_e32 v171, v22, v171                              // 000000004D14: 0B575716
	v_mul_f32_dpp v168, v11, v168 row_newbcast:8 row_mask:0xf bank_mask:0xf// 000000004D18: 0B5150FA FF01580B
	v_mul_f32_dpp v169, v11, v169 row_newbcast:9 row_mask:0xf bank_mask:0xf// 000000004D20: 0B5352FA FF01590B
	v_mul_f32_dpp v170, v11, v170 row_newbcast:10 row_mask:0xf bank_mask:0xf// 000000004D28: 0B5554FA FF015A0B
	v_mul_f32_dpp v171, v11, v171 row_newbcast:11 row_mask:0xf bank_mask:0xf// 000000004D30: 0B5756FA FF015B0B
	v_mul_f32_e32 v168, v17, v168                              // 000000004D38: 0B515111
	v_mul_f32_e32 v169, v17, v169                              // 000000004D3C: 0B535311
	v_mul_f32_e32 v170, v17, v170                              // 000000004D40: 0B555511
	v_mul_f32_e32 v171, v17, v171                              // 000000004D44: 0B575711
	v_cvt_f32_i32_e32 v172, v172                               // 000000004D48: 7F580BAC
	v_cvt_f32_i32_e32 v173, v173                               // 000000004D4C: 7F5A0BAD
	v_cvt_f32_i32_e32 v174, v174                               // 000000004D50: 7F5C0BAE
	v_cvt_f32_i32_e32 v175, v175                               // 000000004D54: 7F5E0BAF
	v_mul_f32_e32 v172, v23, v172                              // 000000004D58: 0B595917
	v_mul_f32_e32 v173, v23, v173                              // 000000004D5C: 0B5B5B17
	v_mul_f32_e32 v174, v23, v174                              // 000000004D60: 0B5D5D17
	v_mul_f32_e32 v175, v23, v175                              // 000000004D64: 0B5F5F17
	v_mul_f32_dpp v172, v11, v172 row_newbcast:8 row_mask:0xf bank_mask:0xf// 000000004D68: 0B5958FA FF01580B
	v_mul_f32_dpp v173, v11, v173 row_newbcast:9 row_mask:0xf bank_mask:0xf// 000000004D70: 0B5B5AFA FF01590B
	v_mul_f32_dpp v174, v11, v174 row_newbcast:10 row_mask:0xf bank_mask:0xf// 000000004D78: 0B5D5CFA FF015A0B
	v_mul_f32_dpp v175, v11, v175 row_newbcast:11 row_mask:0xf bank_mask:0xf// 000000004D80: 0B5F5EFA FF015B0B
	v_mul_f32_e32 v172, v18, v172                              // 000000004D88: 0B595912
	v_mul_f32_e32 v173, v18, v173                              // 000000004D8C: 0B5B5B12
	v_mul_f32_e32 v174, v18, v174                              // 000000004D90: 0B5D5D12
	v_mul_f32_e32 v175, v18, v175                              // 000000004D94: 0B5F5F12
	v_cvt_f32_i32_e32 v176, v176                               // 000000004D98: 7F600BB0
	v_cvt_f32_i32_e32 v177, v177                               // 000000004D9C: 7F620BB1
	v_cvt_f32_i32_e32 v178, v178                               // 000000004DA0: 7F640BB2
	v_cvt_f32_i32_e32 v179, v179                               // 000000004DA4: 7F660BB3
	v_mul_f32_e32 v176, v22, v176                              // 000000004DA8: 0B616116
	v_mul_f32_e32 v177, v22, v177                              // 000000004DAC: 0B636316
	v_mul_f32_e32 v178, v22, v178                              // 000000004DB0: 0B656516
	v_mul_f32_e32 v179, v22, v179                              // 000000004DB4: 0B676716
	v_mul_f32_dpp v176, v11, v176 row_newbcast:12 row_mask:0xf bank_mask:0xf// 000000004DB8: 0B6160FA FF015C0B
	v_mul_f32_dpp v177, v11, v177 row_newbcast:13 row_mask:0xf bank_mask:0xf// 000000004DC0: 0B6362FA FF015D0B
	v_mul_f32_dpp v178, v11, v178 row_newbcast:14 row_mask:0xf bank_mask:0xf// 000000004DC8: 0B6564FA FF015E0B
	v_mul_f32_dpp v179, v11, v179 row_newbcast:15 row_mask:0xf bank_mask:0xf// 000000004DD0: 0B6766FA FF015F0B
	v_mul_f32_e32 v176, v17, v176                              // 000000004DD8: 0B616111
	v_mul_f32_e32 v177, v17, v177                              // 000000004DDC: 0B636311
	v_mul_f32_e32 v178, v17, v178                              // 000000004DE0: 0B656511
	v_mul_f32_e32 v179, v17, v179                              // 000000004DE4: 0B676711
	v_cvt_f32_i32_e32 v180, v180                               // 000000004DE8: 7F680BB4
	v_cvt_f32_i32_e32 v181, v181                               // 000000004DEC: 7F6A0BB5
	v_cvt_f32_i32_e32 v182, v182                               // 000000004DF0: 7F6C0BB6
	v_cvt_f32_i32_e32 v183, v183                               // 000000004DF4: 7F6E0BB7
	v_mul_f32_e32 v180, v23, v180                              // 000000004DF8: 0B696917
	v_mul_f32_e32 v181, v23, v181                              // 000000004DFC: 0B6B6B17
	v_mul_f32_e32 v182, v23, v182                              // 000000004E00: 0B6D6D17
	v_mul_f32_e32 v183, v23, v183                              // 000000004E04: 0B6F6F17
	v_mul_f32_dpp v180, v11, v180 row_newbcast:12 row_mask:0xf bank_mask:0xf// 000000004E08: 0B6968FA FF015C0B
	v_mul_f32_dpp v181, v11, v181 row_newbcast:13 row_mask:0xf bank_mask:0xf// 000000004E10: 0B6B6AFA FF015D0B
	v_mul_f32_dpp v182, v11, v182 row_newbcast:14 row_mask:0xf bank_mask:0xf// 000000004E18: 0B6D6CFA FF015E0B
	v_mul_f32_dpp v183, v11, v183 row_newbcast:15 row_mask:0xf bank_mask:0xf// 000000004E20: 0B6F6EFA FF015F0B
	v_mul_f32_e32 v180, v18, v180                              // 000000004E28: 0B696912
	v_mul_f32_e32 v181, v18, v181                              // 000000004E2C: 0B6B6B12
	v_mul_f32_e32 v182, v18, v182                              // 000000004E30: 0B6D6D12
	v_mul_f32_e32 v183, v18, v183                              // 000000004E34: 0B6F6F12
	v_cmp_u_f32_e64 s[48:49], v152, v152                       // 000000004E38: D0480030 00033198
	v_add3_u32 v39, v152, v42, 1                               // 000000004E40: D1FF0027 02065598
	v_cndmask_b32_e64 v44, v39, v41, s[48:49]                  // 000000004E48: D100002C 00C25327
	v_cmp_u_f32_e64 s[48:49], v153, v153                       // 000000004E50: D0480030 00033399
	v_add3_u32 v39, v153, v42, 1                               // 000000004E58: D1FF0027 02065599
	v_cndmask_b32_e64 v45, v39, v41, s[48:49]                  // 000000004E60: D100002D 00C25327
	v_perm_b32 v152, v45, v44, s52                             // 000000004E68: D1ED0098 00D2592D
	v_cmp_u_f32_e64 s[48:49], v154, v154                       // 000000004E70: D0480030 0003359A
	v_add3_u32 v39, v154, v42, 1                               // 000000004E78: D1FF0027 0206559A
	v_cndmask_b32_e64 v44, v39, v41, s[48:49]                  // 000000004E80: D100002C 00C25327
	v_cmp_u_f32_e64 s[48:49], v155, v155                       // 000000004E88: D0480030 0003379B
	v_add3_u32 v39, v155, v42, 1                               // 000000004E90: D1FF0027 0206559B
	v_cndmask_b32_e64 v45, v39, v41, s[48:49]                  // 000000004E98: D100002D 00C25327
	v_perm_b32 v153, v45, v44, s52                             // 000000004EA0: D1ED0099 00D2592D
	v_cmp_u_f32_e64 s[48:49], v156, v156                       // 000000004EA8: D0480030 0003399C
	v_add3_u32 v39, v156, v42, 1                               // 000000004EB0: D1FF0027 0206559C
	v_cndmask_b32_e64 v44, v39, v41, s[48:49]                  // 000000004EB8: D100002C 00C25327
	v_cmp_u_f32_e64 s[48:49], v157, v157                       // 000000004EC0: D0480030 00033B9D
	v_add3_u32 v39, v157, v42, 1                               // 000000004EC8: D1FF0027 0206559D
	v_cndmask_b32_e64 v45, v39, v41, s[48:49]                  // 000000004ED0: D100002D 00C25327
	v_perm_b32 v154, v45, v44, s52                             // 000000004ED8: D1ED009A 00D2592D
	v_cmp_u_f32_e64 s[48:49], v158, v158                       // 000000004EE0: D0480030 00033D9E
	v_add3_u32 v39, v158, v42, 1                               // 000000004EE8: D1FF0027 0206559E
	v_cndmask_b32_e64 v44, v39, v41, s[48:49]                  // 000000004EF0: D100002C 00C25327
	v_cmp_u_f32_e64 s[48:49], v159, v159                       // 000000004EF8: D0480030 00033F9F
	v_add3_u32 v39, v159, v42, 1                               // 000000004F00: D1FF0027 0206559F
	v_cndmask_b32_e64 v45, v39, v41, s[48:49]                  // 000000004F08: D100002D 00C25327
	v_perm_b32 v155, v45, v44, s52                             // 000000004F10: D1ED009B 00D2592D
	v_cmp_u_f32_e64 s[48:49], v160, v160                       // 000000004F18: D0480030 000341A0
	v_add3_u32 v39, v160, v42, 1                               // 000000004F20: D1FF0027 020655A0
	v_cndmask_b32_e64 v44, v39, v41, s[48:49]                  // 000000004F28: D100002C 00C25327
	v_cmp_u_f32_e64 s[48:49], v161, v161                       // 000000004F30: D0480030 000343A1
	v_add3_u32 v39, v161, v42, 1                               // 000000004F38: D1FF0027 020655A1
	v_cndmask_b32_e64 v45, v39, v41, s[48:49]                  // 000000004F40: D100002D 00C25327
	v_perm_b32 v156, v45, v44, s52                             // 000000004F48: D1ED009C 00D2592D
	v_cmp_u_f32_e64 s[48:49], v162, v162                       // 000000004F50: D0480030 000345A2
	v_add3_u32 v39, v162, v42, 1                               // 000000004F58: D1FF0027 020655A2
	v_cndmask_b32_e64 v44, v39, v41, s[48:49]                  // 000000004F60: D100002C 00C25327
	v_cmp_u_f32_e64 s[48:49], v163, v163                       // 000000004F68: D0480030 000347A3
	v_add3_u32 v39, v163, v42, 1                               // 000000004F70: D1FF0027 020655A3
	v_cndmask_b32_e64 v45, v39, v41, s[48:49]                  // 000000004F78: D100002D 00C25327
	v_perm_b32 v157, v45, v44, s52                             // 000000004F80: D1ED009D 00D2592D
	v_cmp_u_f32_e64 s[48:49], v164, v164                       // 000000004F88: D0480030 000349A4
	v_add3_u32 v39, v164, v42, 1                               // 000000004F90: D1FF0027 020655A4
	v_cndmask_b32_e64 v44, v39, v41, s[48:49]                  // 000000004F98: D100002C 00C25327
	v_cmp_u_f32_e64 s[48:49], v165, v165                       // 000000004FA0: D0480030 00034BA5
	v_add3_u32 v39, v165, v42, 1                               // 000000004FA8: D1FF0027 020655A5
	v_cndmask_b32_e64 v45, v39, v41, s[48:49]                  // 000000004FB0: D100002D 00C25327
	v_perm_b32 v158, v45, v44, s52                             // 000000004FB8: D1ED009E 00D2592D
	v_cmp_u_f32_e64 s[48:49], v166, v166                       // 000000004FC0: D0480030 00034DA6
	v_add3_u32 v39, v166, v42, 1                               // 000000004FC8: D1FF0027 020655A6
	v_cndmask_b32_e64 v44, v39, v41, s[48:49]                  // 000000004FD0: D100002C 00C25327
	v_cmp_u_f32_e64 s[48:49], v167, v167                       // 000000004FD8: D0480030 00034FA7
	v_add3_u32 v39, v167, v42, 1                               // 000000004FE0: D1FF0027 020655A7
	v_cndmask_b32_e64 v45, v39, v41, s[48:49]                  // 000000004FE8: D100002D 00C25327
	v_perm_b32 v159, v45, v44, s52                             // 000000004FF0: D1ED009F 00D2592D
	v_cmp_u_f32_e64 s[48:49], v168, v168                       // 000000004FF8: D0480030 000351A8
	v_add3_u32 v39, v168, v42, 1                               // 000000005000: D1FF0027 020655A8
	v_cndmask_b32_e64 v44, v39, v41, s[48:49]                  // 000000005008: D100002C 00C25327
	v_cmp_u_f32_e64 s[48:49], v169, v169                       // 000000005010: D0480030 000353A9
	v_add3_u32 v39, v169, v42, 1                               // 000000005018: D1FF0027 020655A9
	v_cndmask_b32_e64 v45, v39, v41, s[48:49]                  // 000000005020: D100002D 00C25327
	v_perm_b32 v160, v45, v44, s52                             // 000000005028: D1ED00A0 00D2592D
	v_cmp_u_f32_e64 s[48:49], v170, v170                       // 000000005030: D0480030 000355AA
	v_add3_u32 v39, v170, v42, 1                               // 000000005038: D1FF0027 020655AA
	v_cndmask_b32_e64 v44, v39, v41, s[48:49]                  // 000000005040: D100002C 00C25327
	v_cmp_u_f32_e64 s[48:49], v171, v171                       // 000000005048: D0480030 000357AB
	v_add3_u32 v39, v171, v42, 1                               // 000000005050: D1FF0027 020655AB
	v_cndmask_b32_e64 v45, v39, v41, s[48:49]                  // 000000005058: D100002D 00C25327
	v_perm_b32 v161, v45, v44, s52                             // 000000005060: D1ED00A1 00D2592D
	v_cmp_u_f32_e64 s[48:49], v172, v172                       // 000000005068: D0480030 000359AC
	v_add3_u32 v39, v172, v42, 1                               // 000000005070: D1FF0027 020655AC
	v_cndmask_b32_e64 v44, v39, v41, s[48:49]                  // 000000005078: D100002C 00C25327
	v_cmp_u_f32_e64 s[48:49], v173, v173                       // 000000005080: D0480030 00035BAD
	v_add3_u32 v39, v173, v42, 1                               // 000000005088: D1FF0027 020655AD
	v_cndmask_b32_e64 v45, v39, v41, s[48:49]                  // 000000005090: D100002D 00C25327
	v_perm_b32 v162, v45, v44, s52                             // 000000005098: D1ED00A2 00D2592D
	v_cmp_u_f32_e64 s[48:49], v174, v174                       // 0000000050A0: D0480030 00035DAE
	v_add3_u32 v39, v174, v42, 1                               // 0000000050A8: D1FF0027 020655AE
	v_cndmask_b32_e64 v44, v39, v41, s[48:49]                  // 0000000050B0: D100002C 00C25327
	v_cmp_u_f32_e64 s[48:49], v175, v175                       // 0000000050B8: D0480030 00035FAF
	v_add3_u32 v39, v175, v42, 1                               // 0000000050C0: D1FF0027 020655AF
	v_cndmask_b32_e64 v45, v39, v41, s[48:49]                  // 0000000050C8: D100002D 00C25327
	v_perm_b32 v163, v45, v44, s52                             // 0000000050D0: D1ED00A3 00D2592D
	v_cmp_u_f32_e64 s[48:49], v176, v176                       // 0000000050D8: D0480030 000361B0
	v_add3_u32 v39, v176, v42, 1                               // 0000000050E0: D1FF0027 020655B0
	v_cndmask_b32_e64 v44, v39, v41, s[48:49]                  // 0000000050E8: D100002C 00C25327
	v_cmp_u_f32_e64 s[48:49], v177, v177                       // 0000000050F0: D0480030 000363B1
	v_add3_u32 v39, v177, v42, 1                               // 0000000050F8: D1FF0027 020655B1
	v_cndmask_b32_e64 v45, v39, v41, s[48:49]                  // 000000005100: D100002D 00C25327
	v_perm_b32 v164, v45, v44, s52                             // 000000005108: D1ED00A4 00D2592D
	v_cmp_u_f32_e64 s[48:49], v178, v178                       // 000000005110: D0480030 000365B2
	v_add3_u32 v39, v178, v42, 1                               // 000000005118: D1FF0027 020655B2
	v_cndmask_b32_e64 v44, v39, v41, s[48:49]                  // 000000005120: D100002C 00C25327
	v_cmp_u_f32_e64 s[48:49], v179, v179                       // 000000005128: D0480030 000367B3
	v_add3_u32 v39, v179, v42, 1                               // 000000005130: D1FF0027 020655B3
	v_cndmask_b32_e64 v45, v39, v41, s[48:49]                  // 000000005138: D100002D 00C25327
	v_perm_b32 v165, v45, v44, s52                             // 000000005140: D1ED00A5 00D2592D
	v_cmp_u_f32_e64 s[48:49], v180, v180                       // 000000005148: D0480030 000369B4
	v_add3_u32 v39, v180, v42, 1                               // 000000005150: D1FF0027 020655B4
	v_cndmask_b32_e64 v44, v39, v41, s[48:49]                  // 000000005158: D100002C 00C25327
	v_cmp_u_f32_e64 s[48:49], v181, v181                       // 000000005160: D0480030 00036BB5
	v_add3_u32 v39, v181, v42, 1                               // 000000005168: D1FF0027 020655B5
	v_cndmask_b32_e64 v45, v39, v41, s[48:49]                  // 000000005170: D100002D 00C25327
	v_perm_b32 v166, v45, v44, s52                             // 000000005178: D1ED00A6 00D2592D
	v_cmp_u_f32_e64 s[48:49], v182, v182                       // 000000005180: D0480030 00036DB6
	v_add3_u32 v39, v182, v42, 1                               // 000000005188: D1FF0027 020655B6
	v_cndmask_b32_e64 v44, v39, v41, s[48:49]                  // 000000005190: D100002C 00C25327
	v_cmp_u_f32_e64 s[48:49], v183, v183                       // 000000005198: D0480030 00036FB7
	v_add3_u32 v39, v183, v42, 1                               // 0000000051A0: D1FF0027 020655B7
	v_cndmask_b32_e64 v45, v39, v41, s[48:49]                  // 0000000051A8: D100002D 00C25327
	v_perm_b32 v167, v45, v44, s52                             // 0000000051B0: D1ED00A7 00D2592D
	ds_write_b64 v3, v[152:153] offset:24832                   // 0000000051B8: D89A6100 00009803
	ds_write_b64 v3, v[154:155] offset:33536                   // 0000000051C0: D89A8300 00009A03
	ds_write_b64 v3, v[156:157] offset:27008                   // 0000000051C8: D89A6980 00009C03
	ds_write_b64 v3, v[158:159] offset:35712                   // 0000000051D0: D89A8B80 00009E03
	ds_write_b64 v3, v[160:161] offset:29184                   // 0000000051D8: D89A7200 0000A003
	ds_write_b64 v3, v[162:163] offset:37888                   // 0000000051E0: D89A9400 0000A203
	ds_write_b64 v3, v[164:165] offset:31360                   // 0000000051E8: D89A7A80 0000A403
	ds_write_b64 v3, v[166:167] offset:40064                   // 0000000051F0: D89A9C80 0000A603
	s_waitcnt lgkmcnt(0)                                       // 0000000051F8: BF8CC07F
	s_barrier                                                  // 0000000051FC: BF8A0000
	ds_read_b32 v64, v4 offset:24832                           // 000000005200: D86C6100 40000004
	ds_read_b32 v65, v4 offset:29184                           // 000000005208: D86C7200 41000004
	ds_read_b32 v66, v4 offset:24864                           // 000000005210: D86C6120 42000004
	ds_read_b32 v67, v4 offset:29216                           // 000000005218: D86C7220 43000004
	ds_read_b32 v68, v4 offset:24896                           // 000000005220: D86C6140 44000004
	ds_read_b32 v69, v4 offset:29248                           // 000000005228: D86C7240 45000004
	ds_read_b32 v70, v4 offset:24928                           // 000000005230: D86C6160 46000004
	ds_read_b32 v71, v4 offset:29280                           // 000000005238: D86C7260 47000004
	ds_read_b32 v72, v4 offset:33536                           // 000000005240: D86C8300 48000004
	ds_read_b32 v73, v4 offset:37888                           // 000000005248: D86C9400 49000004
	ds_read_b32 v74, v4 offset:33568                           // 000000005250: D86C8320 4A000004
	ds_read_b32 v75, v4 offset:37920                           // 000000005258: D86C9420 4B000004
	ds_read_b32 v76, v4 offset:33600                           // 000000005260: D86C8340 4C000004
	ds_read_b32 v77, v4 offset:37952                           // 000000005268: D86C9440 4D000004
	ds_read_b32 v78, v4 offset:33632                           // 000000005270: D86C8360 4E000004
	ds_read_b32 v79, v4 offset:37984                           // 000000005278: D86C9460 4F000004
	s_waitcnt lgkmcnt(0)                                       // 000000005280: BF8CC07F
	s_mov_b64 exec, s[20:21]                                   // 000000005284: BEFE0114
	global_atomic_pk_add_bf16 v80, v64, s[8:9]                 // 000000005288: DD488000 00084050
	s_mov_b64 exec, s[36:37]                                   // 000000005290: BEFE0124
	s_mov_b64 exec, s[20:21]                                   // 000000005294: BEFE0114
	global_atomic_pk_add_bf16 v80, v65, s[8:9] offset:256      // 000000005298: DD488100 00084150
	s_mov_b64 exec, s[36:37]                                   // 0000000052A0: BEFE0124
	s_mov_b64 exec, s[22:23]                                   // 0000000052A4: BEFE0116
	global_atomic_pk_add_bf16 v82, v66, s[8:9]                 // 0000000052A8: DD488000 00084252
	s_mov_b64 exec, s[36:37]                                   // 0000000052B0: BEFE0124
	s_mov_b64 exec, s[22:23]                                   // 0000000052B4: BEFE0116
	global_atomic_pk_add_bf16 v82, v67, s[8:9] offset:256      // 0000000052B8: DD488100 00084352
	s_mov_b64 exec, s[36:37]                                   // 0000000052C0: BEFE0124
	s_mov_b64 exec, s[24:25]                                   // 0000000052C4: BEFE0118
	global_atomic_pk_add_bf16 v84, v68, s[8:9]                 // 0000000052C8: DD488000 00084454
	s_mov_b64 exec, s[36:37]                                   // 0000000052D0: BEFE0124
	s_mov_b64 exec, s[24:25]                                   // 0000000052D4: BEFE0118
	global_atomic_pk_add_bf16 v84, v69, s[8:9] offset:256      // 0000000052D8: DD488100 00084554
	s_mov_b64 exec, s[36:37]                                   // 0000000052E0: BEFE0124
	s_mov_b64 exec, s[26:27]                                   // 0000000052E4: BEFE011A
	global_atomic_pk_add_bf16 v86, v70, s[8:9]                 // 0000000052E8: DD488000 00084656
	s_mov_b64 exec, s[36:37]                                   // 0000000052F0: BEFE0124
	s_mov_b64 exec, s[26:27]                                   // 0000000052F4: BEFE011A
	global_atomic_pk_add_bf16 v86, v71, s[8:9] offset:256      // 0000000052F8: DD488100 00084756
	s_mov_b64 exec, s[36:37]                                   // 000000005300: BEFE0124
	s_mov_b64 exec, s[28:29]                                   // 000000005304: BEFE011C
	global_atomic_pk_add_bf16 v88, v72, s[8:9]                 // 000000005308: DD488000 00084858
	s_mov_b64 exec, s[36:37]                                   // 000000005310: BEFE0124
	s_mov_b64 exec, s[28:29]                                   // 000000005314: BEFE011C
	global_atomic_pk_add_bf16 v88, v73, s[8:9] offset:256      // 000000005318: DD488100 00084958
	s_mov_b64 exec, s[36:37]                                   // 000000005320: BEFE0124
	s_mov_b64 exec, s[30:31]                                   // 000000005324: BEFE011E
	global_atomic_pk_add_bf16 v90, v74, s[8:9]                 // 000000005328: DD488000 00084A5A
	s_mov_b64 exec, s[36:37]                                   // 000000005330: BEFE0124
	s_mov_b64 exec, s[30:31]                                   // 000000005334: BEFE011E
	global_atomic_pk_add_bf16 v90, v75, s[8:9] offset:256      // 000000005338: DD488100 00084B5A
	s_mov_b64 exec, s[36:37]                                   // 000000005340: BEFE0124
	s_mov_b64 exec, s[32:33]                                   // 000000005344: BEFE0120
	global_atomic_pk_add_bf16 v92, v76, s[8:9]                 // 000000005348: DD488000 00084C5C
	s_mov_b64 exec, s[36:37]                                   // 000000005350: BEFE0124
	s_mov_b64 exec, s[32:33]                                   // 000000005354: BEFE0120
	global_atomic_pk_add_bf16 v92, v77, s[8:9] offset:256      // 000000005358: DD488100 00084D5C
	s_mov_b64 exec, s[36:37]                                   // 000000005360: BEFE0124
	s_mov_b64 exec, s[34:35]                                   // 000000005364: BEFE0122
	global_atomic_pk_add_bf16 v94, v78, s[8:9]                 // 000000005368: DD488000 00084E5E
	s_mov_b64 exec, s[36:37]                                   // 000000005370: BEFE0124
	s_mov_b64 exec, s[34:35]                                   // 000000005374: BEFE0122
	global_atomic_pk_add_bf16 v94, v79, s[8:9] offset:256      // 000000005378: DD488100 00084F5E
	s_mov_b64 exec, s[36:37]                                   // 000000005380: BEFE0124
	s_add_u32 s8, s59, s8                                      // 000000005384: 8008083B
	s_addc_u32 s9, 0, s9                                       // 000000005388: 82090980
	s_addk_i32 s80, 0x100                                      // 00000000538C: B7500100
	s_cmp_lt_i32 s80, s81                                      // 000000005390: BF045150
	s_cbranch_scc0 label_0BEB                                  // 000000005394: BF840285
	s_waitcnt vmcnt(25)                                        // 000000005398: BF8C4F79
	s_barrier                                                  // 00000000539C: BF8A0000
	v_mfma_i32_16x16x32_i8 v[184:187], a[48:49], v[128:129], 0 // 0000000053A0: D3D700B8 0A030130
	v_mfma_i32_16x16x32_i8 v[184:187], a[50:51], v[130:131], v[184:187]// 0000000053A8: D3D700B8 0EE30532
	buffer_load_dwordx4 a[0:3], v35, s[12:15], 0 offen         // 0000000053B0: E05C1000 80830023
	v_mfma_i32_16x16x32_i8 v[188:191], a[48:49], v[140:141], 0 // 0000000053B8: D3D700BC 0A031930
	v_mfma_i32_16x16x32_i8 v[188:191], a[50:51], v[142:143], v[188:191]// 0000000053C0: D3D700BC 0EF31D32
	v_mfma_i32_16x16x32_i8 v[192:195], a[52:53], v[128:129], 0 // 0000000053C8: D3D700C0 0A030134
	v_mfma_i32_16x16x32_i8 v[192:195], a[54:55], v[130:131], v[192:195]// 0000000053D0: D3D700C0 0F030536
	buffer_load_dwordx4 a[4:7], v36, s[12:15], 0 offen         // 0000000053D8: E05C1000 80830424
	v_mfma_i32_16x16x32_i8 v[196:199], a[52:53], v[140:141], 0 // 0000000053E0: D3D700C4 0A031934
	v_mfma_i32_16x16x32_i8 v[196:199], a[54:55], v[142:143], v[196:199]// 0000000053E8: D3D700C4 0F131D36
	v_mfma_i32_16x16x32_i8 v[200:203], a[56:57], v[128:129], 0 // 0000000053F0: D3D700C8 0A030138
	v_mfma_i32_16x16x32_i8 v[200:203], a[58:59], v[130:131], v[200:203]// 0000000053F8: D3D700C8 0F23053A
	buffer_load_dwordx4 a[8:11], v37, s[12:15], 0 offen        // 000000005400: E05C1000 80830825
	v_mfma_i32_16x16x32_i8 v[204:207], a[56:57], v[140:141], 0 // 000000005408: D3D700CC 0A031938
	v_mfma_i32_16x16x32_i8 v[204:207], a[58:59], v[142:143], v[204:207]// 000000005410: D3D700CC 0F331D3A
	v_mfma_i32_16x16x32_i8 v[208:211], a[60:61], v[128:129], 0 // 000000005418: D3D700D0 0A03013C
	v_mfma_i32_16x16x32_i8 v[208:211], a[62:63], v[130:131], v[208:211]// 000000005420: D3D700D0 0F43053E
	buffer_load_dwordx4 a[12:15], v38, s[12:15], 0 offen       // 000000005428: E05C1000 80830C26
	s_add_u32 s12, s78, s12                                    // 000000005430: 800C0C4E
	s_addc_u32 s13, 0, s13                                     // 000000005434: 820D0D80
	v_mfma_i32_16x16x32_i8 v[212:215], a[60:61], v[140:141], 0 // 000000005438: D3D700D4 0A03193C
	v_mfma_i32_16x16x32_i8 v[212:215], a[62:63], v[142:143], v[212:215]// 000000005440: D3D700D4 0F531D3E
	s_waitcnt vmcnt(25)                                        // 000000005448: BF8C4F79
	v_mfma_i32_16x16x32_i8 v[184:187], a[64:65], v[132:133], v[184:187]// 00000000544C: D3D700B8 0EE30940
	v_mfma_i32_16x16x32_i8 v[184:187], a[66:67], v[134:135], v[184:187]// 000000005454: D3D700B8 0EE30D42
	buffer_load_dwordx4 a[16:19], v35, s[12:15], 0 offen       // 00000000545C: E05C1000 80831023
	v_mfma_i32_16x16x32_i8 v[188:191], a[64:65], v[144:145], v[188:191]// 000000005464: D3D700BC 0EF32140
	v_mfma_i32_16x16x32_i8 v[188:191], a[66:67], v[146:147], v[188:191]// 00000000546C: D3D700BC 0EF32542
	v_mfma_i32_16x16x32_i8 v[192:195], a[68:69], v[132:133], v[192:195]// 000000005474: D3D700C0 0F030944
	v_mfma_i32_16x16x32_i8 v[192:195], a[70:71], v[134:135], v[192:195]// 00000000547C: D3D700C0 0F030D46
	buffer_load_dwordx4 a[20:23], v36, s[12:15], 0 offen       // 000000005484: E05C1000 80831424
	v_mfma_i32_16x16x32_i8 v[196:199], a[68:69], v[144:145], v[196:199]// 00000000548C: D3D700C4 0F132144
	v_mfma_i32_16x16x32_i8 v[196:199], a[70:71], v[146:147], v[196:199]// 000000005494: D3D700C4 0F132546
	v_mfma_i32_16x16x32_i8 v[200:203], a[72:73], v[132:133], v[200:203]// 00000000549C: D3D700C8 0F230948
	v_mfma_i32_16x16x32_i8 v[200:203], a[74:75], v[134:135], v[200:203]// 0000000054A4: D3D700C8 0F230D4A
	buffer_load_dwordx4 a[24:27], v37, s[12:15], 0 offen       // 0000000054AC: E05C1000 80831825
	v_mfma_i32_16x16x32_i8 v[204:207], a[72:73], v[144:145], v[204:207]// 0000000054B4: D3D700CC 0F332148
	v_mfma_i32_16x16x32_i8 v[204:207], a[74:75], v[146:147], v[204:207]// 0000000054BC: D3D700CC 0F33254A
	v_mfma_i32_16x16x32_i8 v[208:211], a[76:77], v[132:133], v[208:211]// 0000000054C4: D3D700D0 0F43094C
	v_mfma_i32_16x16x32_i8 v[208:211], a[78:79], v[134:135], v[208:211]// 0000000054CC: D3D700D0 0F430D4E
	buffer_load_dwordx4 a[28:31], v38, s[12:15], 0 offen       // 0000000054D4: E05C1000 80831C26
	s_add_u32 s12, s78, s12                                    // 0000000054DC: 800C0C4E
	s_addc_u32 s13, 0, s13                                     // 0000000054E0: 820D0D80
	v_mfma_i32_16x16x32_i8 v[212:215], a[76:77], v[144:145], v[212:215]// 0000000054E4: D3D700D4 0F53214C
	v_mfma_i32_16x16x32_i8 v[212:215], a[78:79], v[146:147], v[212:215]// 0000000054EC: D3D700D4 0F53254E
	s_waitcnt vmcnt(24)                                        // 0000000054F4: BF8C4F78
	v_mfma_i32_16x16x32_i8 v[184:187], a[80:81], v[136:137], v[184:187]// 0000000054F8: D3D700B8 0EE31150
	v_mfma_i32_16x16x32_i8 v[184:187], a[82:83], v[138:139], v[184:187]// 000000005500: D3D700B8 0EE31552
	buffer_load_dwordx4 a[32:35], v35, s[12:15], 0 offen       // 000000005508: E05C1000 80832023
	v_mfma_i32_16x16x32_i8 v[188:191], a[80:81], v[148:149], v[188:191]// 000000005510: D3D700BC 0EF32950
	v_mfma_i32_16x16x32_i8 v[188:191], a[82:83], v[150:151], v[188:191]// 000000005518: D3D700BC 0EF32D52
	buffer_load_dword v11, v5, s[16:19], 0 offen               // 000000005520: E0501000 80040B05
	v_mfma_i32_16x16x32_i8 v[192:195], a[84:85], v[136:137], v[192:195]// 000000005528: D3D700C0 0F031154
	v_mfma_i32_16x16x32_i8 v[192:195], a[86:87], v[138:139], v[192:195]// 000000005530: D3D700C0 0F031556
	buffer_load_dwordx4 a[36:39], v36, s[12:15], 0 offen       // 000000005538: E05C1000 80832424
	v_mfma_i32_16x16x32_i8 v[196:199], a[84:85], v[148:149], v[196:199]// 000000005540: D3D700C4 0F132954
	v_mfma_i32_16x16x32_i8 v[196:199], a[86:87], v[150:151], v[196:199]// 000000005548: D3D700C4 0F132D56
	v_mfma_i32_16x16x32_i8 v[200:203], a[88:89], v[136:137], v[200:203]// 000000005550: D3D700C8 0F231158
	v_mfma_i32_16x16x32_i8 v[200:203], a[90:91], v[138:139], v[200:203]// 000000005558: D3D700C8 0F23155A
	buffer_load_dwordx4 a[40:43], v37, s[12:15], 0 offen       // 000000005560: E05C1000 80832825
	v_mfma_i32_16x16x32_i8 v[204:207], a[88:89], v[148:149], v[204:207]// 000000005568: D3D700CC 0F332958
	v_mfma_i32_16x16x32_i8 v[204:207], a[90:91], v[150:151], v[204:207]// 000000005570: D3D700CC 0F332D5A
	v_mfma_i32_16x16x32_i8 v[208:211], a[92:93], v[136:137], v[208:211]// 000000005578: D3D700D0 0F43115C
	v_mfma_i32_16x16x32_i8 v[208:211], a[94:95], v[138:139], v[208:211]// 000000005580: D3D700D0 0F43155E
	buffer_load_dwordx4 a[44:47], v38, s[12:15], 0 offen       // 000000005588: E05C1000 80832C26
	v_mfma_i32_16x16x32_i8 v[212:215], a[92:93], v[148:149], v[212:215]// 000000005590: D3D700D4 0F53295C
	v_mfma_i32_16x16x32_i8 v[212:215], a[94:95], v[150:151], v[212:215]// 000000005598: D3D700D4 0F532D5E
	s_add_u32 s60, 0x200, s80                                  // 0000000055A0: 803C50FF 00000200
	s_cmp_lt_u32 s60, s81                                      // 0000000055A8: BF0A513C
	s_cselect_b32 s56, s56, 0                                  // 0000000055AC: 85388038
	s_cselect_b32 s78, s78, 0                                  // 0000000055B0: 854E804E
	s_cselect_b32 s79, s79, 0                                  // 0000000055B4: 854F804F
	s_add_u32 s12, s56, s12                                    // 0000000055B8: 800C0C38
	s_addc_u32 s13, 0, s13                                     // 0000000055BC: 820D0D80
	s_add_u32 s16, s79, s16                                    // 0000000055C0: 8010104F
	s_addc_u32 s17, 0, s17                                     // 0000000055C4: 82111180
	v_cvt_f32_i32_e32 v184, v184                               // 0000000055C8: 7F700BB8
	v_cvt_f32_i32_e32 v185, v185                               // 0000000055CC: 7F720BB9
	v_cvt_f32_i32_e32 v186, v186                               // 0000000055D0: 7F740BBA
	v_cvt_f32_i32_e32 v187, v187                               // 0000000055D4: 7F760BBB
	v_mul_f32_e32 v184, v22, v184                              // 0000000055D8: 0B717116
	v_mul_f32_e32 v185, v22, v185                              // 0000000055DC: 0B737316
	v_mul_f32_e32 v186, v22, v186                              // 0000000055E0: 0B757516
	v_mul_f32_e32 v187, v22, v187                              // 0000000055E4: 0B777716
	v_mul_f32_dpp v184, v12, v184 row_newbcast:0 row_mask:0xf bank_mask:0xf// 0000000055E8: 0B7170FA FF01500C
	v_mul_f32_dpp v185, v12, v185 row_newbcast:1 row_mask:0xf bank_mask:0xf// 0000000055F0: 0B7372FA FF01510C
	v_mul_f32_dpp v186, v12, v186 row_newbcast:2 row_mask:0xf bank_mask:0xf// 0000000055F8: 0B7574FA FF01520C
	v_mul_f32_dpp v187, v12, v187 row_newbcast:3 row_mask:0xf bank_mask:0xf// 000000005600: 0B7776FA FF01530C
	v_mul_f32_e32 v184, v17, v184                              // 000000005608: 0B717111
	v_mul_f32_e32 v185, v17, v185                              // 00000000560C: 0B737311
	v_mul_f32_e32 v186, v17, v186                              // 000000005610: 0B757511
	v_mul_f32_e32 v187, v17, v187                              // 000000005614: 0B777711
	v_cvt_f32_i32_e32 v188, v188                               // 000000005618: 7F780BBC
	v_cvt_f32_i32_e32 v189, v189                               // 00000000561C: 7F7A0BBD
	v_cvt_f32_i32_e32 v190, v190                               // 000000005620: 7F7C0BBE
	v_cvt_f32_i32_e32 v191, v191                               // 000000005624: 7F7E0BBF
	v_mul_f32_e32 v188, v23, v188                              // 000000005628: 0B797917
	v_mul_f32_e32 v189, v23, v189                              // 00000000562C: 0B7B7B17
	v_mul_f32_e32 v190, v23, v190                              // 000000005630: 0B7D7D17
	v_mul_f32_e32 v191, v23, v191                              // 000000005634: 0B7F7F17
	v_mul_f32_dpp v188, v12, v188 row_newbcast:0 row_mask:0xf bank_mask:0xf// 000000005638: 0B7978FA FF01500C
	v_mul_f32_dpp v189, v12, v189 row_newbcast:1 row_mask:0xf bank_mask:0xf// 000000005640: 0B7B7AFA FF01510C
	v_mul_f32_dpp v190, v12, v190 row_newbcast:2 row_mask:0xf bank_mask:0xf// 000000005648: 0B7D7CFA FF01520C
	v_mul_f32_dpp v191, v12, v191 row_newbcast:3 row_mask:0xf bank_mask:0xf// 000000005650: 0B7F7EFA FF01530C
	v_mul_f32_e32 v188, v18, v188                              // 000000005658: 0B797912
	v_mul_f32_e32 v189, v18, v189                              // 00000000565C: 0B7B7B12
	v_mul_f32_e32 v190, v18, v190                              // 000000005660: 0B7D7D12
	v_mul_f32_e32 v191, v18, v191                              // 000000005664: 0B7F7F12
	v_cvt_f32_i32_e32 v192, v192                               // 000000005668: 7F800BC0
	v_cvt_f32_i32_e32 v193, v193                               // 00000000566C: 7F820BC1
	v_cvt_f32_i32_e32 v194, v194                               // 000000005670: 7F840BC2
	v_cvt_f32_i32_e32 v195, v195                               // 000000005674: 7F860BC3
	v_mul_f32_e32 v192, v22, v192                              // 000000005678: 0B818116
	v_mul_f32_e32 v193, v22, v193                              // 00000000567C: 0B838316
	v_mul_f32_e32 v194, v22, v194                              // 000000005680: 0B858516
	v_mul_f32_e32 v195, v22, v195                              // 000000005684: 0B878716
	v_mul_f32_dpp v192, v12, v192 row_newbcast:4 row_mask:0xf bank_mask:0xf// 000000005688: 0B8180FA FF01540C
	v_mul_f32_dpp v193, v12, v193 row_newbcast:5 row_mask:0xf bank_mask:0xf// 000000005690: 0B8382FA FF01550C
	v_mul_f32_dpp v194, v12, v194 row_newbcast:6 row_mask:0xf bank_mask:0xf// 000000005698: 0B8584FA FF01560C
	v_mul_f32_dpp v195, v12, v195 row_newbcast:7 row_mask:0xf bank_mask:0xf// 0000000056A0: 0B8786FA FF01570C
	v_mul_f32_e32 v192, v17, v192                              // 0000000056A8: 0B818111
	v_mul_f32_e32 v193, v17, v193                              // 0000000056AC: 0B838311
	v_mul_f32_e32 v194, v17, v194                              // 0000000056B0: 0B858511
	v_mul_f32_e32 v195, v17, v195                              // 0000000056B4: 0B878711
	v_cvt_f32_i32_e32 v196, v196                               // 0000000056B8: 7F880BC4
	v_cvt_f32_i32_e32 v197, v197                               // 0000000056BC: 7F8A0BC5
	v_cvt_f32_i32_e32 v198, v198                               // 0000000056C0: 7F8C0BC6
	v_cvt_f32_i32_e32 v199, v199                               // 0000000056C4: 7F8E0BC7
	v_mul_f32_e32 v196, v23, v196                              // 0000000056C8: 0B898917
	v_mul_f32_e32 v197, v23, v197                              // 0000000056CC: 0B8B8B17
	v_mul_f32_e32 v198, v23, v198                              // 0000000056D0: 0B8D8D17
	v_mul_f32_e32 v199, v23, v199                              // 0000000056D4: 0B8F8F17
	v_mul_f32_dpp v196, v12, v196 row_newbcast:4 row_mask:0xf bank_mask:0xf// 0000000056D8: 0B8988FA FF01540C
	v_mul_f32_dpp v197, v12, v197 row_newbcast:5 row_mask:0xf bank_mask:0xf// 0000000056E0: 0B8B8AFA FF01550C
	v_mul_f32_dpp v198, v12, v198 row_newbcast:6 row_mask:0xf bank_mask:0xf// 0000000056E8: 0B8D8CFA FF01560C
	v_mul_f32_dpp v199, v12, v199 row_newbcast:7 row_mask:0xf bank_mask:0xf// 0000000056F0: 0B8F8EFA FF01570C
	v_mul_f32_e32 v196, v18, v196                              // 0000000056F8: 0B898912
	v_mul_f32_e32 v197, v18, v197                              // 0000000056FC: 0B8B8B12
	v_mul_f32_e32 v198, v18, v198                              // 000000005700: 0B8D8D12
	v_mul_f32_e32 v199, v18, v199                              // 000000005704: 0B8F8F12
	v_cvt_f32_i32_e32 v200, v200                               // 000000005708: 7F900BC8
	v_cvt_f32_i32_e32 v201, v201                               // 00000000570C: 7F920BC9
	v_cvt_f32_i32_e32 v202, v202                               // 000000005710: 7F940BCA
	v_cvt_f32_i32_e32 v203, v203                               // 000000005714: 7F960BCB
	v_mul_f32_e32 v200, v22, v200                              // 000000005718: 0B919116
	v_mul_f32_e32 v201, v22, v201                              // 00000000571C: 0B939316
	v_mul_f32_e32 v202, v22, v202                              // 000000005720: 0B959516
	v_mul_f32_e32 v203, v22, v203                              // 000000005724: 0B979716
	v_mul_f32_dpp v200, v12, v200 row_newbcast:8 row_mask:0xf bank_mask:0xf// 000000005728: 0B9190FA FF01580C
	v_mul_f32_dpp v201, v12, v201 row_newbcast:9 row_mask:0xf bank_mask:0xf// 000000005730: 0B9392FA FF01590C
	v_mul_f32_dpp v202, v12, v202 row_newbcast:10 row_mask:0xf bank_mask:0xf// 000000005738: 0B9594FA FF015A0C
	v_mul_f32_dpp v203, v12, v203 row_newbcast:11 row_mask:0xf bank_mask:0xf// 000000005740: 0B9796FA FF015B0C
	v_mul_f32_e32 v200, v17, v200                              // 000000005748: 0B919111
	v_mul_f32_e32 v201, v17, v201                              // 00000000574C: 0B939311
	v_mul_f32_e32 v202, v17, v202                              // 000000005750: 0B959511
	v_mul_f32_e32 v203, v17, v203                              // 000000005754: 0B979711
	v_cvt_f32_i32_e32 v204, v204                               // 000000005758: 7F980BCC
	v_cvt_f32_i32_e32 v205, v205                               // 00000000575C: 7F9A0BCD
	v_cvt_f32_i32_e32 v206, v206                               // 000000005760: 7F9C0BCE
	v_cvt_f32_i32_e32 v207, v207                               // 000000005764: 7F9E0BCF
	v_mul_f32_e32 v204, v23, v204                              // 000000005768: 0B999917
	v_mul_f32_e32 v205, v23, v205                              // 00000000576C: 0B9B9B17
	v_mul_f32_e32 v206, v23, v206                              // 000000005770: 0B9D9D17
	v_mul_f32_e32 v207, v23, v207                              // 000000005774: 0B9F9F17
	v_mul_f32_dpp v204, v12, v204 row_newbcast:8 row_mask:0xf bank_mask:0xf// 000000005778: 0B9998FA FF01580C
	v_mul_f32_dpp v205, v12, v205 row_newbcast:9 row_mask:0xf bank_mask:0xf// 000000005780: 0B9B9AFA FF01590C
	v_mul_f32_dpp v206, v12, v206 row_newbcast:10 row_mask:0xf bank_mask:0xf// 000000005788: 0B9D9CFA FF015A0C
	v_mul_f32_dpp v207, v12, v207 row_newbcast:11 row_mask:0xf bank_mask:0xf// 000000005790: 0B9F9EFA FF015B0C
	v_mul_f32_e32 v204, v18, v204                              // 000000005798: 0B999912
	v_mul_f32_e32 v205, v18, v205                              // 00000000579C: 0B9B9B12
	v_mul_f32_e32 v206, v18, v206                              // 0000000057A0: 0B9D9D12
	v_mul_f32_e32 v207, v18, v207                              // 0000000057A4: 0B9F9F12
	v_cvt_f32_i32_e32 v208, v208                               // 0000000057A8: 7FA00BD0
	v_cvt_f32_i32_e32 v209, v209                               // 0000000057AC: 7FA20BD1
	v_cvt_f32_i32_e32 v210, v210                               // 0000000057B0: 7FA40BD2
	v_cvt_f32_i32_e32 v211, v211                               // 0000000057B4: 7FA60BD3
	v_mul_f32_e32 v208, v22, v208                              // 0000000057B8: 0BA1A116
	v_mul_f32_e32 v209, v22, v209                              // 0000000057BC: 0BA3A316
	v_mul_f32_e32 v210, v22, v210                              // 0000000057C0: 0BA5A516
	v_mul_f32_e32 v211, v22, v211                              // 0000000057C4: 0BA7A716
	v_mul_f32_dpp v208, v12, v208 row_newbcast:12 row_mask:0xf bank_mask:0xf// 0000000057C8: 0BA1A0FA FF015C0C
	v_mul_f32_dpp v209, v12, v209 row_newbcast:13 row_mask:0xf bank_mask:0xf// 0000000057D0: 0BA3A2FA FF015D0C
	v_mul_f32_dpp v210, v12, v210 row_newbcast:14 row_mask:0xf bank_mask:0xf// 0000000057D8: 0BA5A4FA FF015E0C
	v_mul_f32_dpp v211, v12, v211 row_newbcast:15 row_mask:0xf bank_mask:0xf// 0000000057E0: 0BA7A6FA FF015F0C
	v_mul_f32_e32 v208, v17, v208                              // 0000000057E8: 0BA1A111
	v_mul_f32_e32 v209, v17, v209                              // 0000000057EC: 0BA3A311
	v_mul_f32_e32 v210, v17, v210                              // 0000000057F0: 0BA5A511
	v_mul_f32_e32 v211, v17, v211                              // 0000000057F4: 0BA7A711
	v_cvt_f32_i32_e32 v212, v212                               // 0000000057F8: 7FA80BD4
	v_cvt_f32_i32_e32 v213, v213                               // 0000000057FC: 7FAA0BD5
	v_cvt_f32_i32_e32 v214, v214                               // 000000005800: 7FAC0BD6
	v_cvt_f32_i32_e32 v215, v215                               // 000000005804: 7FAE0BD7
	v_mul_f32_e32 v212, v23, v212                              // 000000005808: 0BA9A917
	v_mul_f32_e32 v213, v23, v213                              // 00000000580C: 0BABAB17
	v_mul_f32_e32 v214, v23, v214                              // 000000005810: 0BADAD17
	v_mul_f32_e32 v215, v23, v215                              // 000000005814: 0BAFAF17
	v_mul_f32_dpp v212, v12, v212 row_newbcast:12 row_mask:0xf bank_mask:0xf// 000000005818: 0BA9A8FA FF015C0C
	v_mul_f32_dpp v213, v12, v213 row_newbcast:13 row_mask:0xf bank_mask:0xf// 000000005820: 0BABAAFA FF015D0C
	v_mul_f32_dpp v214, v12, v214 row_newbcast:14 row_mask:0xf bank_mask:0xf// 000000005828: 0BADACFA FF015E0C
	v_mul_f32_dpp v215, v12, v215 row_newbcast:15 row_mask:0xf bank_mask:0xf// 000000005830: 0BAFAEFA FF015F0C
	v_mul_f32_e32 v212, v18, v212                              // 000000005838: 0BA9A912
	v_mul_f32_e32 v213, v18, v213                              // 00000000583C: 0BABAB12
	v_mul_f32_e32 v214, v18, v214                              // 000000005840: 0BADAD12
	v_mul_f32_e32 v215, v18, v215                              // 000000005844: 0BAFAF12
	v_cmp_u_f32_e64 s[48:49], v184, v184                       // 000000005848: D0480030 000371B8
	v_add3_u32 v39, v184, v42, 1                               // 000000005850: D1FF0027 020655B8
	v_cndmask_b32_e64 v44, v39, v41, s[48:49]                  // 000000005858: D100002C 00C25327
	v_cmp_u_f32_e64 s[48:49], v185, v185                       // 000000005860: D0480030 000373B9
	v_add3_u32 v39, v185, v42, 1                               // 000000005868: D1FF0027 020655B9
	v_cndmask_b32_e64 v45, v39, v41, s[48:49]                  // 000000005870: D100002D 00C25327
	v_perm_b32 v184, v45, v44, s52                             // 000000005878: D1ED00B8 00D2592D
	v_cmp_u_f32_e64 s[48:49], v186, v186                       // 000000005880: D0480030 000375BA
	v_add3_u32 v39, v186, v42, 1                               // 000000005888: D1FF0027 020655BA
	v_cndmask_b32_e64 v44, v39, v41, s[48:49]                  // 000000005890: D100002C 00C25327
	v_cmp_u_f32_e64 s[48:49], v187, v187                       // 000000005898: D0480030 000377BB
	v_add3_u32 v39, v187, v42, 1                               // 0000000058A0: D1FF0027 020655BB
	v_cndmask_b32_e64 v45, v39, v41, s[48:49]                  // 0000000058A8: D100002D 00C25327
	v_perm_b32 v185, v45, v44, s52                             // 0000000058B0: D1ED00B9 00D2592D
	v_cmp_u_f32_e64 s[48:49], v188, v188                       // 0000000058B8: D0480030 000379BC
	v_add3_u32 v39, v188, v42, 1                               // 0000000058C0: D1FF0027 020655BC
	v_cndmask_b32_e64 v44, v39, v41, s[48:49]                  // 0000000058C8: D100002C 00C25327
	v_cmp_u_f32_e64 s[48:49], v189, v189                       // 0000000058D0: D0480030 00037BBD
	v_add3_u32 v39, v189, v42, 1                               // 0000000058D8: D1FF0027 020655BD
	v_cndmask_b32_e64 v45, v39, v41, s[48:49]                  // 0000000058E0: D100002D 00C25327
	v_perm_b32 v186, v45, v44, s52                             // 0000000058E8: D1ED00BA 00D2592D
	v_cmp_u_f32_e64 s[48:49], v190, v190                       // 0000000058F0: D0480030 00037DBE
	v_add3_u32 v39, v190, v42, 1                               // 0000000058F8: D1FF0027 020655BE
	v_cndmask_b32_e64 v44, v39, v41, s[48:49]                  // 000000005900: D100002C 00C25327
	v_cmp_u_f32_e64 s[48:49], v191, v191                       // 000000005908: D0480030 00037FBF
	v_add3_u32 v39, v191, v42, 1                               // 000000005910: D1FF0027 020655BF
	v_cndmask_b32_e64 v45, v39, v41, s[48:49]                  // 000000005918: D100002D 00C25327
	v_perm_b32 v187, v45, v44, s52                             // 000000005920: D1ED00BB 00D2592D
	v_cmp_u_f32_e64 s[48:49], v192, v192                       // 000000005928: D0480030 000381C0
	v_add3_u32 v39, v192, v42, 1                               // 000000005930: D1FF0027 020655C0
	v_cndmask_b32_e64 v44, v39, v41, s[48:49]                  // 000000005938: D100002C 00C25327
	v_cmp_u_f32_e64 s[48:49], v193, v193                       // 000000005940: D0480030 000383C1
	v_add3_u32 v39, v193, v42, 1                               // 000000005948: D1FF0027 020655C1
	v_cndmask_b32_e64 v45, v39, v41, s[48:49]                  // 000000005950: D100002D 00C25327
	v_perm_b32 v188, v45, v44, s52                             // 000000005958: D1ED00BC 00D2592D
	v_cmp_u_f32_e64 s[48:49], v194, v194                       // 000000005960: D0480030 000385C2
	v_add3_u32 v39, v194, v42, 1                               // 000000005968: D1FF0027 020655C2
	v_cndmask_b32_e64 v44, v39, v41, s[48:49]                  // 000000005970: D100002C 00C25327
	v_cmp_u_f32_e64 s[48:49], v195, v195                       // 000000005978: D0480030 000387C3
	v_add3_u32 v39, v195, v42, 1                               // 000000005980: D1FF0027 020655C3
	v_cndmask_b32_e64 v45, v39, v41, s[48:49]                  // 000000005988: D100002D 00C25327
	v_perm_b32 v189, v45, v44, s52                             // 000000005990: D1ED00BD 00D2592D
	v_cmp_u_f32_e64 s[48:49], v196, v196                       // 000000005998: D0480030 000389C4
	v_add3_u32 v39, v196, v42, 1                               // 0000000059A0: D1FF0027 020655C4
	v_cndmask_b32_e64 v44, v39, v41, s[48:49]                  // 0000000059A8: D100002C 00C25327
	v_cmp_u_f32_e64 s[48:49], v197, v197                       // 0000000059B0: D0480030 00038BC5
	v_add3_u32 v39, v197, v42, 1                               // 0000000059B8: D1FF0027 020655C5
	v_cndmask_b32_e64 v45, v39, v41, s[48:49]                  // 0000000059C0: D100002D 00C25327
	v_perm_b32 v190, v45, v44, s52                             // 0000000059C8: D1ED00BE 00D2592D
	v_cmp_u_f32_e64 s[48:49], v198, v198                       // 0000000059D0: D0480030 00038DC6
	v_add3_u32 v39, v198, v42, 1                               // 0000000059D8: D1FF0027 020655C6
	v_cndmask_b32_e64 v44, v39, v41, s[48:49]                  // 0000000059E0: D100002C 00C25327
	v_cmp_u_f32_e64 s[48:49], v199, v199                       // 0000000059E8: D0480030 00038FC7
	v_add3_u32 v39, v199, v42, 1                               // 0000000059F0: D1FF0027 020655C7
	v_cndmask_b32_e64 v45, v39, v41, s[48:49]                  // 0000000059F8: D100002D 00C25327
	v_perm_b32 v191, v45, v44, s52                             // 000000005A00: D1ED00BF 00D2592D
	v_cmp_u_f32_e64 s[48:49], v200, v200                       // 000000005A08: D0480030 000391C8
	v_add3_u32 v39, v200, v42, 1                               // 000000005A10: D1FF0027 020655C8
	v_cndmask_b32_e64 v44, v39, v41, s[48:49]                  // 000000005A18: D100002C 00C25327
	v_cmp_u_f32_e64 s[48:49], v201, v201                       // 000000005A20: D0480030 000393C9
	v_add3_u32 v39, v201, v42, 1                               // 000000005A28: D1FF0027 020655C9
	v_cndmask_b32_e64 v45, v39, v41, s[48:49]                  // 000000005A30: D100002D 00C25327
	v_perm_b32 v192, v45, v44, s52                             // 000000005A38: D1ED00C0 00D2592D
	v_cmp_u_f32_e64 s[48:49], v202, v202                       // 000000005A40: D0480030 000395CA
	v_add3_u32 v39, v202, v42, 1                               // 000000005A48: D1FF0027 020655CA
	v_cndmask_b32_e64 v44, v39, v41, s[48:49]                  // 000000005A50: D100002C 00C25327
	v_cmp_u_f32_e64 s[48:49], v203, v203                       // 000000005A58: D0480030 000397CB
	v_add3_u32 v39, v203, v42, 1                               // 000000005A60: D1FF0027 020655CB
	v_cndmask_b32_e64 v45, v39, v41, s[48:49]                  // 000000005A68: D100002D 00C25327
	v_perm_b32 v193, v45, v44, s52                             // 000000005A70: D1ED00C1 00D2592D
	v_cmp_u_f32_e64 s[48:49], v204, v204                       // 000000005A78: D0480030 000399CC
	v_add3_u32 v39, v204, v42, 1                               // 000000005A80: D1FF0027 020655CC
	v_cndmask_b32_e64 v44, v39, v41, s[48:49]                  // 000000005A88: D100002C 00C25327
	v_cmp_u_f32_e64 s[48:49], v205, v205                       // 000000005A90: D0480030 00039BCD
	v_add3_u32 v39, v205, v42, 1                               // 000000005A98: D1FF0027 020655CD
	v_cndmask_b32_e64 v45, v39, v41, s[48:49]                  // 000000005AA0: D100002D 00C25327
	v_perm_b32 v194, v45, v44, s52                             // 000000005AA8: D1ED00C2 00D2592D
	v_cmp_u_f32_e64 s[48:49], v206, v206                       // 000000005AB0: D0480030 00039DCE
	v_add3_u32 v39, v206, v42, 1                               // 000000005AB8: D1FF0027 020655CE
	v_cndmask_b32_e64 v44, v39, v41, s[48:49]                  // 000000005AC0: D100002C 00C25327
	v_cmp_u_f32_e64 s[48:49], v207, v207                       // 000000005AC8: D0480030 00039FCF
	v_add3_u32 v39, v207, v42, 1                               // 000000005AD0: D1FF0027 020655CF
	v_cndmask_b32_e64 v45, v39, v41, s[48:49]                  // 000000005AD8: D100002D 00C25327
	v_perm_b32 v195, v45, v44, s52                             // 000000005AE0: D1ED00C3 00D2592D
	v_cmp_u_f32_e64 s[48:49], v208, v208                       // 000000005AE8: D0480030 0003A1D0
	v_add3_u32 v39, v208, v42, 1                               // 000000005AF0: D1FF0027 020655D0
	v_cndmask_b32_e64 v44, v39, v41, s[48:49]                  // 000000005AF8: D100002C 00C25327
	v_cmp_u_f32_e64 s[48:49], v209, v209                       // 000000005B00: D0480030 0003A3D1
	v_add3_u32 v39, v209, v42, 1                               // 000000005B08: D1FF0027 020655D1
	v_cndmask_b32_e64 v45, v39, v41, s[48:49]                  // 000000005B10: D100002D 00C25327
	v_perm_b32 v196, v45, v44, s52                             // 000000005B18: D1ED00C4 00D2592D
	v_cmp_u_f32_e64 s[48:49], v210, v210                       // 000000005B20: D0480030 0003A5D2
	v_add3_u32 v39, v210, v42, 1                               // 000000005B28: D1FF0027 020655D2
	v_cndmask_b32_e64 v44, v39, v41, s[48:49]                  // 000000005B30: D100002C 00C25327
	v_cmp_u_f32_e64 s[48:49], v211, v211                       // 000000005B38: D0480030 0003A7D3
	v_add3_u32 v39, v211, v42, 1                               // 000000005B40: D1FF0027 020655D3
	v_cndmask_b32_e64 v45, v39, v41, s[48:49]                  // 000000005B48: D100002D 00C25327
	v_perm_b32 v197, v45, v44, s52                             // 000000005B50: D1ED00C5 00D2592D
	v_cmp_u_f32_e64 s[48:49], v212, v212                       // 000000005B58: D0480030 0003A9D4
	v_add3_u32 v39, v212, v42, 1                               // 000000005B60: D1FF0027 020655D4
	v_cndmask_b32_e64 v44, v39, v41, s[48:49]                  // 000000005B68: D100002C 00C25327
	v_cmp_u_f32_e64 s[48:49], v213, v213                       // 000000005B70: D0480030 0003ABD5
	v_add3_u32 v39, v213, v42, 1                               // 000000005B78: D1FF0027 020655D5
	v_cndmask_b32_e64 v45, v39, v41, s[48:49]                  // 000000005B80: D100002D 00C25327
	v_perm_b32 v198, v45, v44, s52                             // 000000005B88: D1ED00C6 00D2592D
	v_cmp_u_f32_e64 s[48:49], v214, v214                       // 000000005B90: D0480030 0003ADD6
	v_add3_u32 v39, v214, v42, 1                               // 000000005B98: D1FF0027 020655D6
	v_cndmask_b32_e64 v44, v39, v41, s[48:49]                  // 000000005BA0: D100002C 00C25327
	v_cmp_u_f32_e64 s[48:49], v215, v215                       // 000000005BA8: D0480030 0003AFD7
	v_add3_u32 v39, v215, v42, 1                               // 000000005BB0: D1FF0027 020655D7
	v_cndmask_b32_e64 v45, v39, v41, s[48:49]                  // 000000005BB8: D100002D 00C25327
	v_perm_b32 v199, v45, v44, s52                             // 000000005BC0: D1ED00C7 00D2592D
	ds_write_b64 v3, v[184:185] offset:24832                   // 000000005BC8: D89A6100 0000B803
	ds_write_b64 v3, v[186:187] offset:33536                   // 000000005BD0: D89A8300 0000BA03
	ds_write_b64 v3, v[188:189] offset:27008                   // 000000005BD8: D89A6980 0000BC03
	ds_write_b64 v3, v[190:191] offset:35712                   // 000000005BE0: D89A8B80 0000BE03
	ds_write_b64 v3, v[192:193] offset:29184                   // 000000005BE8: D89A7200 0000C003
	ds_write_b64 v3, v[194:195] offset:37888                   // 000000005BF0: D89A9400 0000C203
	ds_write_b64 v3, v[196:197] offset:31360                   // 000000005BF8: D89A7A80 0000C403
	ds_write_b64 v3, v[198:199] offset:40064                   // 000000005C00: D89A9C80 0000C603
	s_waitcnt lgkmcnt(0)                                       // 000000005C08: BF8CC07F
	s_barrier                                                  // 000000005C0C: BF8A0000
	ds_read_b32 v64, v4 offset:24832                           // 000000005C10: D86C6100 40000004
	ds_read_b32 v65, v4 offset:29184                           // 000000005C18: D86C7200 41000004
	ds_read_b32 v66, v4 offset:24864                           // 000000005C20: D86C6120 42000004
	ds_read_b32 v67, v4 offset:29216                           // 000000005C28: D86C7220 43000004
	ds_read_b32 v68, v4 offset:24896                           // 000000005C30: D86C6140 44000004
	ds_read_b32 v69, v4 offset:29248                           // 000000005C38: D86C7240 45000004
	ds_read_b32 v70, v4 offset:24928                           // 000000005C40: D86C6160 46000004
	ds_read_b32 v71, v4 offset:29280                           // 000000005C48: D86C7260 47000004
	ds_read_b32 v72, v4 offset:33536                           // 000000005C50: D86C8300 48000004
	ds_read_b32 v73, v4 offset:37888                           // 000000005C58: D86C9400 49000004
	ds_read_b32 v74, v4 offset:33568                           // 000000005C60: D86C8320 4A000004
	ds_read_b32 v75, v4 offset:37920                           // 000000005C68: D86C9420 4B000004
	ds_read_b32 v76, v4 offset:33600                           // 000000005C70: D86C8340 4C000004
	ds_read_b32 v77, v4 offset:37952                           // 000000005C78: D86C9440 4D000004
	ds_read_b32 v78, v4 offset:33632                           // 000000005C80: D86C8360 4E000004
	ds_read_b32 v79, v4 offset:37984                           // 000000005C88: D86C9460 4F000004
	s_waitcnt lgkmcnt(0)                                       // 000000005C90: BF8CC07F
	s_mov_b64 exec, s[20:21]                                   // 000000005C94: BEFE0114
	global_atomic_pk_add_bf16 v80, v64, s[8:9]                 // 000000005C98: DD488000 00084050
	s_mov_b64 exec, s[36:37]                                   // 000000005CA0: BEFE0124
	s_mov_b64 exec, s[20:21]                                   // 000000005CA4: BEFE0114
	global_atomic_pk_add_bf16 v80, v65, s[8:9] offset:256      // 000000005CA8: DD488100 00084150
	s_mov_b64 exec, s[36:37]                                   // 000000005CB0: BEFE0124
	s_mov_b64 exec, s[22:23]                                   // 000000005CB4: BEFE0116
	global_atomic_pk_add_bf16 v82, v66, s[8:9]                 // 000000005CB8: DD488000 00084252
	s_mov_b64 exec, s[36:37]                                   // 000000005CC0: BEFE0124
	s_mov_b64 exec, s[22:23]                                   // 000000005CC4: BEFE0116
	global_atomic_pk_add_bf16 v82, v67, s[8:9] offset:256      // 000000005CC8: DD488100 00084352
	s_mov_b64 exec, s[36:37]                                   // 000000005CD0: BEFE0124
	s_mov_b64 exec, s[24:25]                                   // 000000005CD4: BEFE0118
	global_atomic_pk_add_bf16 v84, v68, s[8:9]                 // 000000005CD8: DD488000 00084454
	s_mov_b64 exec, s[36:37]                                   // 000000005CE0: BEFE0124
	s_mov_b64 exec, s[24:25]                                   // 000000005CE4: BEFE0118
	global_atomic_pk_add_bf16 v84, v69, s[8:9] offset:256      // 000000005CE8: DD488100 00084554
	s_mov_b64 exec, s[36:37]                                   // 000000005CF0: BEFE0124
	s_mov_b64 exec, s[26:27]                                   // 000000005CF4: BEFE011A
	global_atomic_pk_add_bf16 v86, v70, s[8:9]                 // 000000005CF8: DD488000 00084656
	s_mov_b64 exec, s[36:37]                                   // 000000005D00: BEFE0124
	s_mov_b64 exec, s[26:27]                                   // 000000005D04: BEFE011A
	global_atomic_pk_add_bf16 v86, v71, s[8:9] offset:256      // 000000005D08: DD488100 00084756
	s_mov_b64 exec, s[36:37]                                   // 000000005D10: BEFE0124
	s_mov_b64 exec, s[28:29]                                   // 000000005D14: BEFE011C
	global_atomic_pk_add_bf16 v88, v72, s[8:9]                 // 000000005D18: DD488000 00084858
	s_mov_b64 exec, s[36:37]                                   // 000000005D20: BEFE0124
	s_mov_b64 exec, s[28:29]                                   // 000000005D24: BEFE011C
	global_atomic_pk_add_bf16 v88, v73, s[8:9] offset:256      // 000000005D28: DD488100 00084958
	s_mov_b64 exec, s[36:37]                                   // 000000005D30: BEFE0124
	s_mov_b64 exec, s[30:31]                                   // 000000005D34: BEFE011E
	global_atomic_pk_add_bf16 v90, v74, s[8:9]                 // 000000005D38: DD488000 00084A5A
	s_mov_b64 exec, s[36:37]                                   // 000000005D40: BEFE0124
	s_mov_b64 exec, s[30:31]                                   // 000000005D44: BEFE011E
	global_atomic_pk_add_bf16 v90, v75, s[8:9] offset:256      // 000000005D48: DD488100 00084B5A
	s_mov_b64 exec, s[36:37]                                   // 000000005D50: BEFE0124
	s_mov_b64 exec, s[32:33]                                   // 000000005D54: BEFE0120
	global_atomic_pk_add_bf16 v92, v76, s[8:9]                 // 000000005D58: DD488000 00084C5C
	s_mov_b64 exec, s[36:37]                                   // 000000005D60: BEFE0124
	s_mov_b64 exec, s[32:33]                                   // 000000005D64: BEFE0120
	global_atomic_pk_add_bf16 v92, v77, s[8:9] offset:256      // 000000005D68: DD488100 00084D5C
	s_mov_b64 exec, s[36:37]                                   // 000000005D70: BEFE0124
	s_mov_b64 exec, s[34:35]                                   // 000000005D74: BEFE0122
	global_atomic_pk_add_bf16 v94, v78, s[8:9]                 // 000000005D78: DD488000 00084E5E
	s_mov_b64 exec, s[36:37]                                   // 000000005D80: BEFE0124
	s_mov_b64 exec, s[34:35]                                   // 000000005D84: BEFE0122
	global_atomic_pk_add_bf16 v94, v79, s[8:9] offset:256      // 000000005D88: DD488100 00084F5E
	s_mov_b64 exec, s[36:37]                                   // 000000005D90: BEFE0124
	s_add_u32 s8, s59, s8                                      // 000000005D94: 8008083B
	s_addc_u32 s9, 0, s9                                       // 000000005D98: 82090980
	s_addk_i32 s80, 0x100                                      // 000000005D9C: B7500100
	s_cmp_lt_i32 s80, s81                                      // 000000005DA0: BF045150
	s_cbranch_scc0 label_0BEB                                  // 000000005DA4: BF840001
	s_branch label_06E2                                        // 000000005DA8: BF82FAF7

0000000000005dac <label_0BEB>:
	s_nop 0                                                    // 000000005DAC: BF800000
	s_nop 0                                                    // 000000005DB0: BF800000
	s_branch label_1538                                        // 000000005DB4: BF82094A

0000000000005db8 <label_0BEE>:
	s_waitcnt vmcnt(4) lgkmcnt(0)                              // 000000005DB8: BF8C0074
	s_barrier                                                  // 000000005DBC: BF8A0000
	v_mfma_i32_16x16x32_i8 v[128:131], a[0:1], v[152:153], v[128:131]// 000000005DC0: D3D70080 0E033100
	buffer_load_dwordx4 a[48:51], v32, s[24:27], 0 offen       // 000000005DC8: E05C1000 80863020
	v_mfma_i32_16x16x32_i8 v[128:131], a[2:3], v[154:155], v[128:131]// 000000005DD0: D3D70080 0E033502
	v_mfma_i32_16x16x32_i8 v[128:131], a[4:5], v[156:157], v[128:131]// 000000005DD8: D3D70080 0E033904
	buffer_load_dword v24, s[20:23], 0 offen lds               // 000000005DE0: E0511000 80050018
	s_add_u32 m0, 0x100, s50                                   // 000000005DE8: 807C32FF 00000100
	v_mfma_i32_16x16x32_i8 v[128:131], a[6:7], v[158:159], v[128:131]// 000000005DF0: D3D70080 0E033D06
	v_mfma_i32_16x16x32_i8 v[128:131], a[8:9], v[160:161], v[128:131]// 000000005DF8: D3D70080 0E034108
	buffer_load_dwordx4 a[52:55], v32, s[24:27], 0 offen offset:1024// 000000005E00: E05C1400 80863420
	v_mfma_i32_16x16x32_i8 v[128:131], a[10:11], v[162:163], v[128:131]// 000000005E08: D3D70080 0E03450A
	v_mfma_i32_16x16x32_i8 v[128:131], a[12:13], v[164:165], v[128:131]// 000000005E10: D3D70080 0E03490C
	buffer_load_dword v25, s[20:23], 0 offen lds               // 000000005E18: E0511000 80050019
	s_add_u32 m0, 0x200, s50                                   // 000000005E20: 807C32FF 00000200
	v_mfma_i32_16x16x32_i8 v[128:131], a[14:15], v[166:167], v[128:131]// 000000005E28: D3D70080 0E034D0E
	v_mfma_i32_16x16x32_i8 v[132:135], a[0:1], v[168:169], v[132:135]// 000000005E30: D3D70084 0E135100
	buffer_load_dwordx4 a[56:59], v32, s[24:27], 0 offen offset:2048// 000000005E38: E05C1800 80863820
	v_mfma_i32_16x16x32_i8 v[132:135], a[2:3], v[170:171], v[132:135]// 000000005E40: D3D70084 0E135502
	v_mfma_i32_16x16x32_i8 v[132:135], a[4:5], v[172:173], v[132:135]// 000000005E48: D3D70084 0E135904
	buffer_load_dword v26, s[20:23], 0 offen lds               // 000000005E50: E0511000 8005001A
	s_add_u32 m0, 0x300, s50                                   // 000000005E58: 807C32FF 00000300
	v_mfma_i32_16x16x32_i8 v[132:135], a[6:7], v[174:175], v[132:135]// 000000005E60: D3D70084 0E135D06
	v_mfma_i32_16x16x32_i8 v[132:135], a[8:9], v[176:177], v[132:135]// 000000005E68: D3D70084 0E136108
	buffer_load_dwordx4 a[60:63], v32, s[24:27], 0 offen offset:3072// 000000005E70: E05C1C00 80863C20
	v_mfma_i32_16x16x32_i8 v[132:135], a[10:11], v[178:179], v[132:135]// 000000005E78: D3D70084 0E13650A
	v_mfma_i32_16x16x32_i8 v[132:135], a[12:13], v[180:181], v[132:135]// 000000005E80: D3D70084 0E13690C
	buffer_load_dword v27, s[20:23], 0 offen lds               // 000000005E88: E0511000 8005001B
	s_add_u32 m0, 0x400, s50                                   // 000000005E90: 807C32FF 00000400
	v_mfma_i32_16x16x32_i8 v[132:135], a[14:15], v[182:183], v[132:135]// 000000005E98: D3D70084 0E136D0E
	v_mfma_i32_16x16x32_i8 v[136:139], a[16:17], v[152:153], v[136:139]// 000000005EA0: D3D70088 0E233110
	buffer_load_dwordx4 a[64:67], v33, s[24:27], 0 offen       // 000000005EA8: E05C1000 80864021
	v_mfma_i32_16x16x32_i8 v[136:139], a[18:19], v[154:155], v[136:139]// 000000005EB0: D3D70088 0E233512
	v_mfma_i32_16x16x32_i8 v[136:139], a[20:21], v[156:157], v[136:139]// 000000005EB8: D3D70088 0E233914
	buffer_load_dword v28, s[20:23], 0 offen lds               // 000000005EC0: E0511000 8005001C
	s_add_u32 m0, 0x500, s50                                   // 000000005EC8: 807C32FF 00000500
	ds_read_b128 v[184:187], v2 offset:8320                    // 000000005ED0: D9FE2080 B8000002
	v_mfma_i32_16x16x32_i8 v[136:139], a[22:23], v[158:159], v[136:139]// 000000005ED8: D3D70088 0E233D16
	v_mfma_i32_16x16x32_i8 v[136:139], a[24:25], v[160:161], v[136:139]// 000000005EE0: D3D70088 0E234118
	buffer_load_dwordx4 a[68:71], v33, s[24:27], 0 offen offset:1024// 000000005EE8: E05C1400 80864421
	v_mfma_i32_16x16x32_i8 v[136:139], a[26:27], v[162:163], v[136:139]// 000000005EF0: D3D70088 0E23451A
	v_mfma_i32_16x16x32_i8 v[136:139], a[28:29], v[164:165], v[136:139]// 000000005EF8: D3D70088 0E23491C
	buffer_load_dword v29, s[20:23], 0 offen lds               // 000000005F00: E0511000 8005001D
	s_add_u32 m0, 0x600, s50                                   // 000000005F08: 807C32FF 00000600
	ds_read_b128 v[188:191], v2 offset:8384                    // 000000005F10: D9FE20C0 BC000002
	v_mfma_i32_16x16x32_i8 v[136:139], a[30:31], v[166:167], v[136:139]// 000000005F18: D3D70088 0E234D1E
	v_mfma_i32_16x16x32_i8 v[140:143], a[16:17], v[168:169], v[140:143]// 000000005F20: D3D7008C 0E335110
	buffer_load_dwordx4 a[72:75], v33, s[24:27], 0 offen offset:2048// 000000005F28: E05C1800 80864821
	v_mfma_i32_16x16x32_i8 v[140:143], a[18:19], v[170:171], v[140:143]// 000000005F30: D3D7008C 0E335512
	v_mfma_i32_16x16x32_i8 v[140:143], a[20:21], v[172:173], v[140:143]// 000000005F38: D3D7008C 0E335914
	buffer_load_dword v30, s[20:23], 0 offen lds               // 000000005F40: E0511000 8005001E
	s_add_u32 m0, 0x700, s50                                   // 000000005F48: 807C32FF 00000700
	ds_read_b128 v[192:195], v2 offset:8448                    // 000000005F50: D9FE2100 C0000002
	v_mfma_i32_16x16x32_i8 v[140:143], a[22:23], v[174:175], v[140:143]// 000000005F58: D3D7008C 0E335D16
	v_mfma_i32_16x16x32_i8 v[140:143], a[24:25], v[176:177], v[140:143]// 000000005F60: D3D7008C 0E336118
	buffer_load_dwordx4 a[76:79], v33, s[24:27], 0 offen offset:3072// 000000005F68: E05C1C00 80864C21
	v_mfma_i32_16x16x32_i8 v[140:143], a[26:27], v[178:179], v[140:143]// 000000005F70: D3D7008C 0E33651A
	v_mfma_i32_16x16x32_i8 v[140:143], a[28:29], v[180:181], v[140:143]// 000000005F78: D3D7008C 0E33691C
	buffer_load_dword v31, s[20:23], 0 offen lds               // 000000005F80: E0511000 8005001F
	s_add_u32 m0, 0, s51                                       // 000000005F88: 807C3380
	ds_read_b128 v[196:199], v2 offset:8512                    // 000000005F8C: D9FE2140 C4000002
	v_mfma_i32_16x16x32_i8 v[140:143], a[30:31], v[182:183], v[140:143]// 000000005F94: D3D7008C 0E336D1E
	s_waitcnt vmcnt(16)                                        // 000000005F9C: BF8C4F70
	v_mfma_i32_16x16x32_i8 v[144:147], a[32:33], v[152:153], v[144:147]// 000000005FA0: D3D70090 0E433120
	buffer_load_dwordx4 a[80:83], v34, s[24:27], 0 offen       // 000000005FA8: E05C1000 80865022
	v_mfma_i32_16x16x32_i8 v[144:147], a[34:35], v[154:155], v[144:147]// 000000005FB0: D3D70090 0E433522
	v_mfma_i32_16x16x32_i8 v[144:147], a[36:37], v[156:157], v[144:147]// 000000005FB8: D3D70090 0E433924
	ds_read_b128 v[200:203], v2 offset:9344                    // 000000005FC0: D9FE2480 C8000002
	v_mfma_i32_16x16x32_i8 v[144:147], a[38:39], v[158:159], v[144:147]// 000000005FC8: D3D70090 0E433D26
	v_mfma_i32_16x16x32_i8 v[144:147], a[40:41], v[160:161], v[144:147]// 000000005FD0: D3D70090 0E434128
	buffer_load_dwordx4 a[84:87], v34, s[24:27], 0 offen offset:1024// 000000005FD8: E05C1400 80865422
	v_mfma_i32_16x16x32_i8 v[144:147], a[42:43], v[162:163], v[144:147]// 000000005FE0: D3D70090 0E43452A
	v_mfma_i32_16x16x32_i8 v[144:147], a[44:45], v[164:165], v[144:147]// 000000005FE8: D3D70090 0E43492C
	ds_read_b128 v[204:207], v2 offset:9408                    // 000000005FF0: D9FE24C0 CC000002
	v_mfma_i32_16x16x32_i8 v[144:147], a[46:47], v[166:167], v[144:147]// 000000005FF8: D3D70090 0E434D2E
	v_mfma_i32_16x16x32_i8 v[148:151], a[32:33], v[168:169], v[148:151]// 000000006000: D3D70094 0E535120
	buffer_load_dwordx4 a[88:91], v34, s[24:27], 0 offen offset:2048// 000000006008: E05C1800 80865822
	v_mfma_i32_16x16x32_i8 v[148:151], a[34:35], v[170:171], v[148:151]// 000000006010: D3D70094 0E535522
	v_mfma_i32_16x16x32_i8 v[148:151], a[36:37], v[172:173], v[148:151]// 000000006018: D3D70094 0E535924
	ds_read_b128 v[208:211], v2 offset:9472                    // 000000006020: D9FE2500 D0000002
	v_mfma_i32_16x16x32_i8 v[148:151], a[38:39], v[174:175], v[148:151]// 000000006028: D3D70094 0E535D26
	v_mfma_i32_16x16x32_i8 v[148:151], a[40:41], v[176:177], v[148:151]// 000000006030: D3D70094 0E536128
	buffer_load_dwordx4 a[92:95], v34, s[24:27], 0 offen offset:3072// 000000006038: E05C1C00 80865C22
	v_mfma_i32_16x16x32_i8 v[148:151], a[42:43], v[178:179], v[148:151]// 000000006040: D3D70094 0E53652A
	v_mfma_i32_16x16x32_i8 v[148:151], a[44:45], v[180:181], v[148:151]// 000000006048: D3D70094 0E53692C
	ds_read_b128 v[212:215], v2 offset:9536                    // 000000006050: D9FE2540 D4000002
	v_mfma_i32_16x16x32_i8 v[148:151], a[46:47], v[182:183], v[148:151]// 000000006058: D3D70094 0E536D2E
	s_add_u32 s60, 0x300, s80                                  // 000000006060: 803C50FF 00000300
	s_cmp_lt_u32 s60, s81                                      // 000000006068: BF0A513C
	s_cselect_b32 s57, s57, 0                                  // 00000000606C: 85398039
	s_add_u32 s60, 0x200, s80                                  // 000000006070: 803C50FF 00000200
	s_cmp_lt_u32 s60, s81                                      // 000000006078: BF0A513C
	s_cselect_b32 s58, s58, 0                                  // 00000000607C: 853A803A
	s_add_u32 s20, s57, s20                                    // 000000006080: 80141439
	s_addc_u32 s21, 0, s21                                     // 000000006084: 82151580
	s_add_u32 s24, s58, s24                                    // 000000006088: 8018183A
	s_addc_u32 s25, 0, s25                                     // 00000000608C: 82191980
	s_addk_i32 s80, 0x100                                      // 000000006090: B7500100
	s_cmp_lt_i32 s80, s81                                      // 000000006094: BF045150
	s_cbranch_scc0 label_0D61                                  // 000000006098: BF8400BA
	s_waitcnt vmcnt(4) lgkmcnt(0)                              // 00000000609C: BF8C0074
	s_barrier                                                  // 0000000060A0: BF8A0000
	v_mfma_i32_16x16x32_i8 v[128:131], a[48:49], v[184:185], v[128:131]// 0000000060A4: D3D70080 0E037130
	buffer_load_dwordx4 a[0:3], v32, s[24:27], 0 offen         // 0000000060AC: E05C1000 80860020
	v_mfma_i32_16x16x32_i8 v[128:131], a[50:51], v[186:187], v[128:131]// 0000000060B4: D3D70080 0E037532
	v_mfma_i32_16x16x32_i8 v[128:131], a[52:53], v[188:189], v[128:131]// 0000000060BC: D3D70080 0E037934
	buffer_load_dword v24, s[20:23], 0 offen lds               // 0000000060C4: E0511000 80050018
	s_add_u32 m0, 0x100, s51                                   // 0000000060CC: 807C33FF 00000100
	v_mfma_i32_16x16x32_i8 v[128:131], a[54:55], v[190:191], v[128:131]// 0000000060D4: D3D70080 0E037D36
	v_mfma_i32_16x16x32_i8 v[128:131], a[56:57], v[192:193], v[128:131]// 0000000060DC: D3D70080 0E038138
	buffer_load_dwordx4 a[4:7], v32, s[24:27], 0 offen offset:1024// 0000000060E4: E05C1400 80860420
	v_mfma_i32_16x16x32_i8 v[128:131], a[58:59], v[194:195], v[128:131]// 0000000060EC: D3D70080 0E03853A
	v_mfma_i32_16x16x32_i8 v[128:131], a[60:61], v[196:197], v[128:131]// 0000000060F4: D3D70080 0E03893C
	buffer_load_dword v25, s[20:23], 0 offen lds               // 0000000060FC: E0511000 80050019
	s_add_u32 m0, 0x200, s51                                   // 000000006104: 807C33FF 00000200
	v_mfma_i32_16x16x32_i8 v[128:131], a[62:63], v[198:199], v[128:131]// 00000000610C: D3D70080 0E038D3E
	v_mfma_i32_16x16x32_i8 v[132:135], a[48:49], v[200:201], v[132:135]// 000000006114: D3D70084 0E139130
	buffer_load_dwordx4 a[8:11], v32, s[24:27], 0 offen offset:2048// 00000000611C: E05C1800 80860820
	v_mfma_i32_16x16x32_i8 v[132:135], a[50:51], v[202:203], v[132:135]// 000000006124: D3D70084 0E139532
	v_mfma_i32_16x16x32_i8 v[132:135], a[52:53], v[204:205], v[132:135]// 00000000612C: D3D70084 0E139934
	buffer_load_dword v26, s[20:23], 0 offen lds               // 000000006134: E0511000 8005001A
	s_add_u32 m0, 0x300, s51                                   // 00000000613C: 807C33FF 00000300
	v_mfma_i32_16x16x32_i8 v[132:135], a[54:55], v[206:207], v[132:135]// 000000006144: D3D70084 0E139D36
	v_mfma_i32_16x16x32_i8 v[132:135], a[56:57], v[208:209], v[132:135]// 00000000614C: D3D70084 0E13A138
	buffer_load_dwordx4 a[12:15], v32, s[24:27], 0 offen offset:3072// 000000006154: E05C1C00 80860C20
	v_mfma_i32_16x16x32_i8 v[132:135], a[58:59], v[210:211], v[132:135]// 00000000615C: D3D70084 0E13A53A
	v_mfma_i32_16x16x32_i8 v[132:135], a[60:61], v[212:213], v[132:135]// 000000006164: D3D70084 0E13A93C
	buffer_load_dword v27, s[20:23], 0 offen lds               // 00000000616C: E0511000 8005001B
	s_add_u32 m0, 0x400, s51                                   // 000000006174: 807C33FF 00000400
	v_mfma_i32_16x16x32_i8 v[132:135], a[62:63], v[214:215], v[132:135]// 00000000617C: D3D70084 0E13AD3E
	v_mfma_i32_16x16x32_i8 v[136:139], a[64:65], v[184:185], v[136:139]// 000000006184: D3D70088 0E237140
	buffer_load_dwordx4 a[16:19], v33, s[24:27], 0 offen       // 00000000618C: E05C1000 80861021
	v_mfma_i32_16x16x32_i8 v[136:139], a[66:67], v[186:187], v[136:139]// 000000006194: D3D70088 0E237542
	v_mfma_i32_16x16x32_i8 v[136:139], a[68:69], v[188:189], v[136:139]// 00000000619C: D3D70088 0E237944
	buffer_load_dword v28, s[20:23], 0 offen lds               // 0000000061A4: E0511000 8005001C
	s_add_u32 m0, 0x500, s51                                   // 0000000061AC: 807C33FF 00000500
	ds_read_b128 v[152:155], v2                                // 0000000061B4: D9FE0000 98000002
	v_mfma_i32_16x16x32_i8 v[136:139], a[70:71], v[190:191], v[136:139]// 0000000061BC: D3D70088 0E237D46
	v_mfma_i32_16x16x32_i8 v[136:139], a[72:73], v[192:193], v[136:139]// 0000000061C4: D3D70088 0E238148
	buffer_load_dwordx4 a[20:23], v33, s[24:27], 0 offen offset:1024// 0000000061CC: E05C1400 80861421
	v_mfma_i32_16x16x32_i8 v[136:139], a[74:75], v[194:195], v[136:139]// 0000000061D4: D3D70088 0E23854A
	v_mfma_i32_16x16x32_i8 v[136:139], a[76:77], v[196:197], v[136:139]// 0000000061DC: D3D70088 0E23894C
	buffer_load_dword v29, s[20:23], 0 offen lds               // 0000000061E4: E0511000 8005001D
	s_add_u32 m0, 0x600, s51                                   // 0000000061EC: 807C33FF 00000600
	ds_read_b128 v[156:159], v2 offset:64                      // 0000000061F4: D9FE0040 9C000002
	v_mfma_i32_16x16x32_i8 v[136:139], a[78:79], v[198:199], v[136:139]// 0000000061FC: D3D70088 0E238D4E
	v_mfma_i32_16x16x32_i8 v[140:143], a[64:65], v[200:201], v[140:143]// 000000006204: D3D7008C 0E339140
	buffer_load_dwordx4 a[24:27], v33, s[24:27], 0 offen offset:2048// 00000000620C: E05C1800 80861821
	v_mfma_i32_16x16x32_i8 v[140:143], a[66:67], v[202:203], v[140:143]// 000000006214: D3D7008C 0E339542
	v_mfma_i32_16x16x32_i8 v[140:143], a[68:69], v[204:205], v[140:143]// 00000000621C: D3D7008C 0E339944
	buffer_load_dword v30, s[20:23], 0 offen lds               // 000000006224: E0511000 8005001E
	s_add_u32 m0, 0x700, s51                                   // 00000000622C: 807C33FF 00000700
	ds_read_b128 v[160:163], v2 offset:128                     // 000000006234: D9FE0080 A0000002
	v_mfma_i32_16x16x32_i8 v[140:143], a[70:71], v[206:207], v[140:143]// 00000000623C: D3D7008C 0E339D46
	v_mfma_i32_16x16x32_i8 v[140:143], a[72:73], v[208:209], v[140:143]// 000000006244: D3D7008C 0E33A148
	buffer_load_dwordx4 a[28:31], v33, s[24:27], 0 offen offset:3072// 00000000624C: E05C1C00 80861C21
	v_mfma_i32_16x16x32_i8 v[140:143], a[74:75], v[210:211], v[140:143]// 000000006254: D3D7008C 0E33A54A
	v_mfma_i32_16x16x32_i8 v[140:143], a[76:77], v[212:213], v[140:143]// 00000000625C: D3D7008C 0E33A94C
	buffer_load_dword v31, s[20:23], 0 offen lds               // 000000006264: E0511000 8005001F
	s_add_u32 m0, 0, s50                                       // 00000000626C: 807C3280
	ds_read_b128 v[164:167], v2 offset:192                     // 000000006270: D9FE00C0 A4000002
	v_mfma_i32_16x16x32_i8 v[140:143], a[78:79], v[214:215], v[140:143]// 000000006278: D3D7008C 0E33AD4E
	s_waitcnt vmcnt(16)                                        // 000000006280: BF8C4F70
	v_mfma_i32_16x16x32_i8 v[144:147], a[80:81], v[184:185], v[144:147]// 000000006284: D3D70090 0E437150
	buffer_load_dwordx4 a[32:35], v34, s[24:27], 0 offen       // 00000000628C: E05C1000 80862022
	v_mfma_i32_16x16x32_i8 v[144:147], a[82:83], v[186:187], v[144:147]// 000000006294: D3D70090 0E437552
	v_mfma_i32_16x16x32_i8 v[144:147], a[84:85], v[188:189], v[144:147]// 00000000629C: D3D70090 0E437954
	ds_read_b128 v[168:171], v2 offset:1024                    // 0000000062A4: D9FE0400 A8000002
	v_mfma_i32_16x16x32_i8 v[144:147], a[86:87], v[190:191], v[144:147]// 0000000062AC: D3D70090 0E437D56
	v_mfma_i32_16x16x32_i8 v[144:147], a[88:89], v[192:193], v[144:147]// 0000000062B4: D3D70090 0E438158
	buffer_load_dwordx4 a[36:39], v34, s[24:27], 0 offen offset:1024// 0000000062BC: E05C1400 80862422
	v_mfma_i32_16x16x32_i8 v[144:147], a[90:91], v[194:195], v[144:147]// 0000000062C4: D3D70090 0E43855A
	v_mfma_i32_16x16x32_i8 v[144:147], a[92:93], v[196:197], v[144:147]// 0000000062CC: D3D70090 0E43895C
	ds_read_b128 v[172:175], v2 offset:1088                    // 0000000062D4: D9FE0440 AC000002
	v_mfma_i32_16x16x32_i8 v[144:147], a[94:95], v[198:199], v[144:147]// 0000000062DC: D3D70090 0E438D5E
	v_mfma_i32_16x16x32_i8 v[148:151], a[80:81], v[200:201], v[148:151]// 0000000062E4: D3D70094 0E539150
	buffer_load_dwordx4 a[40:43], v34, s[24:27], 0 offen offset:2048// 0000000062EC: E05C1800 80862822
	v_mfma_i32_16x16x32_i8 v[148:151], a[82:83], v[202:203], v[148:151]// 0000000062F4: D3D70094 0E539552
	v_mfma_i32_16x16x32_i8 v[148:151], a[84:85], v[204:205], v[148:151]// 0000000062FC: D3D70094 0E539954
	ds_read_b128 v[176:179], v2 offset:1152                    // 000000006304: D9FE0480 B0000002
	v_mfma_i32_16x16x32_i8 v[148:151], a[86:87], v[206:207], v[148:151]// 00000000630C: D3D70094 0E539D56
	v_mfma_i32_16x16x32_i8 v[148:151], a[88:89], v[208:209], v[148:151]// 000000006314: D3D70094 0E53A158
	buffer_load_dwordx4 a[44:47], v34, s[24:27], 0 offen offset:3072// 00000000631C: E05C1C00 80862C22
	v_mfma_i32_16x16x32_i8 v[148:151], a[90:91], v[210:211], v[148:151]// 000000006324: D3D70094 0E53A55A
	v_mfma_i32_16x16x32_i8 v[148:151], a[92:93], v[212:213], v[148:151]// 00000000632C: D3D70094 0E53A95C
	ds_read_b128 v[180:183], v2 offset:1216                    // 000000006334: D9FE04C0 B4000002
	v_mfma_i32_16x16x32_i8 v[148:151], a[94:95], v[214:215], v[148:151]// 00000000633C: D3D70094 0E53AD5E
	s_add_u32 s60, 0x300, s80                                  // 000000006344: 803C50FF 00000300
	s_cmp_lt_u32 s60, s81                                      // 00000000634C: BF0A513C
	s_cselect_b32 s57, s57, 0                                  // 000000006350: 85398039
	s_add_u32 s60, 0x200, s80                                  // 000000006354: 803C50FF 00000200
	s_cmp_lt_u32 s60, s81                                      // 00000000635C: BF0A513C
	s_cselect_b32 s58, s58, 0                                  // 000000006360: 853A803A
	s_add_u32 s20, s57, s20                                    // 000000006364: 80141439
	s_addc_u32 s21, 0, s21                                     // 000000006368: 82151580
	s_add_u32 s24, s58, s24                                    // 00000000636C: 8018183A
	s_addc_u32 s25, 0, s25                                     // 000000006370: 82191980
	s_addk_i32 s80, 0x100                                      // 000000006374: B7500100
	s_cmp_lt_i32 s80, s81                                      // 000000006378: BF045150
	s_cbranch_scc0 label_0D61                                  // 00000000637C: BF840001
	s_branch label_0BEE                                        // 000000006380: BF82FE8D

0000000000006384 <label_0D61>:
	s_mov_b32 s36, -1                                          // 000000006384: BEA400C1
	s_mov_b32 s37, -1                                          // 000000006388: BEA500C1
	s_mov_b64 s[60:61], 0                                      // 00000000638C: BEBC0180
	s_cmp_lt_u32 s82, s66                                      // 000000006390: BF0A4252
	s_cselect_b64 s[20:21], s[36:37], s[60:61]                 // 000000006394: 85943C24
	s_cmp_lt_u32 s83, s66                                      // 000000006398: BF0A4253
	s_cselect_b64 s[22:23], s[36:37], s[60:61]                 // 00000000639C: 85963C24
	s_cmp_lt_u32 s84, s66                                      // 0000000063A0: BF0A4254
	s_cselect_b64 s[24:25], s[36:37], s[60:61]                 // 0000000063A4: 85983C24
	s_cmp_lt_u32 s85, s66                                      // 0000000063A8: BF0A4255
	s_cselect_b64 s[26:27], s[36:37], s[60:61]                 // 0000000063AC: 859A3C24
	s_cmp_lt_u32 s86, s66                                      // 0000000063B0: BF0A4256
	s_cselect_b64 s[28:29], s[36:37], s[60:61]                 // 0000000063B4: 859C3C24
	s_cmp_lt_u32 s87, s66                                      // 0000000063B8: BF0A4257
	s_cselect_b64 s[30:31], s[36:37], s[60:61]                 // 0000000063BC: 859E3C24
	s_cmp_lt_u32 s88, s66                                      // 0000000063C0: BF0A4258
	s_cselect_b64 s[32:33], s[36:37], s[60:61]                 // 0000000063C4: 85A03C24
	s_cmp_lt_u32 s89, s66                                      // 0000000063C8: BF0A4259
	s_cselect_b64 s[34:35], s[36:37], s[60:61]                 // 0000000063CC: 85A23C24
	v_cvt_f32_i32_e32 v128, v128                               // 0000000063D0: 7F000B80
	v_cvt_f32_i32_e32 v129, v129                               // 0000000063D4: 7F020B81
	v_cvt_f32_i32_e32 v130, v130                               // 0000000063D8: 7F040B82
	v_cvt_f32_i32_e32 v131, v131                               // 0000000063DC: 7F060B83
	v_mul_f32_e32 v128, v13, v128                              // 0000000063E0: 0B01010D
	v_mul_f32_e32 v129, v13, v129                              // 0000000063E4: 0B03030D
	v_mul_f32_e32 v130, v13, v130                              // 0000000063E8: 0B05050D
	v_mul_f32_e32 v131, v13, v131                              // 0000000063EC: 0B07070D
	v_mul_f32_dpp v128, v15, v128 row_newbcast:0 row_mask:0xf bank_mask:0xf// 0000000063F0: 0B0100FA FF01500F
	v_mul_f32_dpp v129, v15, v129 row_newbcast:1 row_mask:0xf bank_mask:0xf// 0000000063F8: 0B0302FA FF01510F
	v_mul_f32_dpp v130, v15, v130 row_newbcast:2 row_mask:0xf bank_mask:0xf// 000000006400: 0B0504FA FF01520F
	v_mul_f32_dpp v131, v15, v131 row_newbcast:3 row_mask:0xf bank_mask:0xf// 000000006408: 0B0706FA FF01530F
	v_cvt_f32_i32_e32 v132, v132                               // 000000006410: 7F080B84
	v_cvt_f32_i32_e32 v133, v133                               // 000000006414: 7F0A0B85
	v_cvt_f32_i32_e32 v134, v134                               // 000000006418: 7F0C0B86
	v_cvt_f32_i32_e32 v135, v135                               // 00000000641C: 7F0E0B87
	v_mul_f32_e32 v132, v14, v132                              // 000000006420: 0B09090E
	v_mul_f32_e32 v133, v14, v133                              // 000000006424: 0B0B0B0E
	v_mul_f32_e32 v134, v14, v134                              // 000000006428: 0B0D0D0E
	v_mul_f32_e32 v135, v14, v135                              // 00000000642C: 0B0F0F0E
	v_mul_f32_dpp v132, v15, v132 row_newbcast:0 row_mask:0xf bank_mask:0xf// 000000006430: 0B0908FA FF01500F
	v_mul_f32_dpp v133, v15, v133 row_newbcast:1 row_mask:0xf bank_mask:0xf// 000000006438: 0B0B0AFA FF01510F
	v_mul_f32_dpp v134, v15, v134 row_newbcast:2 row_mask:0xf bank_mask:0xf// 000000006440: 0B0D0CFA FF01520F
	v_mul_f32_dpp v135, v15, v135 row_newbcast:3 row_mask:0xf bank_mask:0xf// 000000006448: 0B0F0EFA FF01530F
	v_cvt_f32_i32_e32 v136, v136                               // 000000006450: 7F100B88
	v_cvt_f32_i32_e32 v137, v137                               // 000000006454: 7F120B89
	v_cvt_f32_i32_e32 v138, v138                               // 000000006458: 7F140B8A
	v_cvt_f32_i32_e32 v139, v139                               // 00000000645C: 7F160B8B
	v_mul_f32_e32 v136, v13, v136                              // 000000006460: 0B11110D
	v_mul_f32_e32 v137, v13, v137                              // 000000006464: 0B13130D
	v_mul_f32_e32 v138, v13, v138                              // 000000006468: 0B15150D
	v_mul_f32_e32 v139, v13, v139                              // 00000000646C: 0B17170D
	v_mul_f32_dpp v136, v15, v136 row_newbcast:4 row_mask:0xf bank_mask:0xf// 000000006470: 0B1110FA FF01540F
	v_mul_f32_dpp v137, v15, v137 row_newbcast:5 row_mask:0xf bank_mask:0xf// 000000006478: 0B1312FA FF01550F
	v_mul_f32_dpp v138, v15, v138 row_newbcast:6 row_mask:0xf bank_mask:0xf// 000000006480: 0B1514FA FF01560F
	v_mul_f32_dpp v139, v15, v139 row_newbcast:7 row_mask:0xf bank_mask:0xf// 000000006488: 0B1716FA FF01570F
	v_cvt_f32_i32_e32 v140, v140                               // 000000006490: 7F180B8C
	v_cvt_f32_i32_e32 v141, v141                               // 000000006494: 7F1A0B8D
	v_cvt_f32_i32_e32 v142, v142                               // 000000006498: 7F1C0B8E
	v_cvt_f32_i32_e32 v143, v143                               // 00000000649C: 7F1E0B8F
	v_mul_f32_e32 v140, v14, v140                              // 0000000064A0: 0B19190E
	v_mul_f32_e32 v141, v14, v141                              // 0000000064A4: 0B1B1B0E
	v_mul_f32_e32 v142, v14, v142                              // 0000000064A8: 0B1D1D0E
	v_mul_f32_e32 v143, v14, v143                              // 0000000064AC: 0B1F1F0E
	v_mul_f32_dpp v140, v15, v140 row_newbcast:4 row_mask:0xf bank_mask:0xf// 0000000064B0: 0B1918FA FF01540F
	v_mul_f32_dpp v141, v15, v141 row_newbcast:5 row_mask:0xf bank_mask:0xf// 0000000064B8: 0B1B1AFA FF01550F
	v_mul_f32_dpp v142, v15, v142 row_newbcast:6 row_mask:0xf bank_mask:0xf// 0000000064C0: 0B1D1CFA FF01560F
	v_mul_f32_dpp v143, v15, v143 row_newbcast:7 row_mask:0xf bank_mask:0xf// 0000000064C8: 0B1F1EFA FF01570F
	v_cvt_f32_i32_e32 v144, v144                               // 0000000064D0: 7F200B90
	v_cvt_f32_i32_e32 v145, v145                               // 0000000064D4: 7F220B91
	v_cvt_f32_i32_e32 v146, v146                               // 0000000064D8: 7F240B92
	v_cvt_f32_i32_e32 v147, v147                               // 0000000064DC: 7F260B93
	v_mul_f32_e32 v144, v13, v144                              // 0000000064E0: 0B21210D
	v_mul_f32_e32 v145, v13, v145                              // 0000000064E4: 0B23230D
	v_mul_f32_e32 v146, v13, v146                              // 0000000064E8: 0B25250D
	v_mul_f32_e32 v147, v13, v147                              // 0000000064EC: 0B27270D
	v_mul_f32_dpp v144, v15, v144 row_newbcast:8 row_mask:0xf bank_mask:0xf// 0000000064F0: 0B2120FA FF01580F
	v_mul_f32_dpp v145, v15, v145 row_newbcast:9 row_mask:0xf bank_mask:0xf// 0000000064F8: 0B2322FA FF01590F
	v_mul_f32_dpp v146, v15, v146 row_newbcast:10 row_mask:0xf bank_mask:0xf// 000000006500: 0B2524FA FF015A0F
	v_mul_f32_dpp v147, v15, v147 row_newbcast:11 row_mask:0xf bank_mask:0xf// 000000006508: 0B2726FA FF015B0F
	v_cvt_f32_i32_e32 v148, v148                               // 000000006510: 7F280B94
	v_cvt_f32_i32_e32 v149, v149                               // 000000006514: 7F2A0B95
	v_cvt_f32_i32_e32 v150, v150                               // 000000006518: 7F2C0B96
	v_cvt_f32_i32_e32 v151, v151                               // 00000000651C: 7F2E0B97
	v_mul_f32_e32 v148, v14, v148                              // 000000006520: 0B29290E
	v_mul_f32_e32 v149, v14, v149                              // 000000006524: 0B2B2B0E
	v_mul_f32_e32 v150, v14, v150                              // 000000006528: 0B2D2D0E
	v_mul_f32_e32 v151, v14, v151                              // 00000000652C: 0B2F2F0E
	v_mul_f32_dpp v148, v15, v148 row_newbcast:8 row_mask:0xf bank_mask:0xf// 000000006530: 0B2928FA FF01580F
	v_mul_f32_dpp v149, v15, v149 row_newbcast:9 row_mask:0xf bank_mask:0xf// 000000006538: 0B2B2AFA FF01590F
	v_mul_f32_dpp v150, v15, v150 row_newbcast:10 row_mask:0xf bank_mask:0xf// 000000006540: 0B2D2CFA FF015A0F
	v_mul_f32_dpp v151, v15, v151 row_newbcast:11 row_mask:0xf bank_mask:0xf// 000000006548: 0B2F2EFA FF015B0F
	s_waitcnt vmcnt(8)                                         // 000000006550: BF8C0F78
	buffer_load_dwordx4 a[0:3], v35, s[12:15], 0 offen         // 000000006554: E05C1000 80830023
	v_mul_f32_e32 v44, v128, v128                              // 00000000655C: 0A590180
	v_mul_f32_e32 v45, v129, v129                              // 000000006560: 0A5B0381
	v_mul_f32_e32 v46, v130, v130                              // 000000006564: 0A5D0582
	v_mul_f32_e32 v47, v131, v131                              // 000000006568: 0A5F0783
	v_fma_f32 v44, v44, s77, v1                                // 00000000656C: D1CB002C 04049B2C
	v_fma_f32 v45, v45, s77, v1                                // 000000006574: D1CB002D 04049B2D
	v_fma_f32 v46, v46, s77, v1                                // 00000000657C: D1CB002E 04049B2E
	v_fma_f32 v47, v47, s77, v1                                // 000000006584: D1CB002F 04049B2F
	v_mul_f32_e32 v44, v44, v128                               // 00000000658C: 0A59012C
	v_mul_f32_e32 v45, v45, v129                               // 000000006590: 0A5B032D
	v_mul_f32_e32 v46, v46, v130                               // 000000006594: 0A5D052E
	v_mul_f32_e32 v47, v47, v131                               // 000000006598: 0A5F072F
	v_mul_f32_e64 v44, v44, s6                                 // 00000000659C: D105002C 00000D2C
	v_mul_f32_e64 v45, v45, s6                                 // 0000000065A4: D105002D 00000D2D
	v_mul_f32_e64 v46, v46, s6                                 // 0000000065AC: D105002E 00000D2E
	v_mul_f32_e64 v47, v47, s6                                 // 0000000065B4: D105002F 00000D2F
	v_exp_f32_e32 v44, v44                                     // 0000000065BC: 7E58412C
	v_exp_f32_e32 v45, v45                                     // 0000000065C0: 7E5A412D
	v_exp_f32_e32 v46, v46                                     // 0000000065C4: 7E5C412E
	v_exp_f32_e32 v47, v47                                     // 0000000065C8: 7E5E412F
	buffer_load_dwordx4 a[4:7], v36, s[12:15], 0 offen         // 0000000065CC: E05C1000 80830424
	v_add_f32_e64 v44, v44, 1.0                                // 0000000065D4: D101002C 0001E52C
	v_add_f32_e64 v45, v45, 1.0                                // 0000000065DC: D101002D 0001E52D
	v_add_f32_e64 v46, v46, 1.0                                // 0000000065E4: D101002E 0001E52E
	v_add_f32_e64 v47, v47, 1.0                                // 0000000065EC: D101002F 0001E52F
	v_rcp_f32_e32 v44, v44                                     // 0000000065F4: 7E58452C
	v_rcp_f32_e32 v45, v45                                     // 0000000065F8: 7E5A452D
	v_rcp_f32_e32 v46, v46                                     // 0000000065FC: 7E5C452E
	v_rcp_f32_e32 v47, v47                                     // 000000006600: 7E5E452F
	v_mul_f32_e32 v128, v128, v44                              // 000000006604: 0B005980
	v_mul_f32_e32 v129, v129, v45                              // 000000006608: 0B025B81
	v_mul_f32_e32 v130, v130, v46                              // 00000000660C: 0B045D82
	v_mul_f32_e32 v131, v131, v47                              // 000000006610: 0B065F83
	buffer_load_dwordx4 a[8:11], v37, s[12:15], 0 offen        // 000000006614: E05C1000 80830825
	v_mul_f32_e32 v44, v132, v132                              // 00000000661C: 0A590984
	v_mul_f32_e32 v45, v133, v133                              // 000000006620: 0A5B0B85
	v_mul_f32_e32 v46, v134, v134                              // 000000006624: 0A5D0D86
	v_mul_f32_e32 v47, v135, v135                              // 000000006628: 0A5F0F87
	v_fma_f32 v44, v44, s77, v1                                // 00000000662C: D1CB002C 04049B2C
	v_fma_f32 v45, v45, s77, v1                                // 000000006634: D1CB002D 04049B2D
	v_fma_f32 v46, v46, s77, v1                                // 00000000663C: D1CB002E 04049B2E
	v_fma_f32 v47, v47, s77, v1                                // 000000006644: D1CB002F 04049B2F
	v_mul_f32_e32 v44, v44, v132                               // 00000000664C: 0A59092C
	v_mul_f32_e32 v45, v45, v133                               // 000000006650: 0A5B0B2D
	v_mul_f32_e32 v46, v46, v134                               // 000000006654: 0A5D0D2E
	v_mul_f32_e32 v47, v47, v135                               // 000000006658: 0A5F0F2F
	v_mul_f32_e64 v44, v44, s6                                 // 00000000665C: D105002C 00000D2C
	v_mul_f32_e64 v45, v45, s6                                 // 000000006664: D105002D 00000D2D
	v_mul_f32_e64 v46, v46, s6                                 // 00000000666C: D105002E 00000D2E
	v_mul_f32_e64 v47, v47, s6                                 // 000000006674: D105002F 00000D2F
	v_exp_f32_e32 v44, v44                                     // 00000000667C: 7E58412C
	v_exp_f32_e32 v45, v45                                     // 000000006680: 7E5A412D
	v_exp_f32_e32 v46, v46                                     // 000000006684: 7E5C412E
	v_exp_f32_e32 v47, v47                                     // 000000006688: 7E5E412F
	buffer_load_dwordx4 a[12:15], v38, s[12:15], 0 offen       // 00000000668C: E05C1000 80830C26
	s_add_u32 s12, s78, s12                                    // 000000006694: 800C0C4E
	s_addc_u32 s13, 0, s13                                     // 000000006698: 820D0D80
	v_add_f32_e64 v44, v44, 1.0                                // 00000000669C: D101002C 0001E52C
	v_add_f32_e64 v45, v45, 1.0                                // 0000000066A4: D101002D 0001E52D
	v_add_f32_e64 v46, v46, 1.0                                // 0000000066AC: D101002E 0001E52E
	v_add_f32_e64 v47, v47, 1.0                                // 0000000066B4: D101002F 0001E52F
	v_rcp_f32_e32 v44, v44                                     // 0000000066BC: 7E58452C
	v_rcp_f32_e32 v45, v45                                     // 0000000066C0: 7E5A452D
	v_rcp_f32_e32 v46, v46                                     // 0000000066C4: 7E5C452E
	v_rcp_f32_e32 v47, v47                                     // 0000000066C8: 7E5E452F
	v_mul_f32_e32 v132, v132, v44                              // 0000000066CC: 0B085984
	v_mul_f32_e32 v133, v133, v45                              // 0000000066D0: 0B0A5B85
	v_mul_f32_e32 v134, v134, v46                              // 0000000066D4: 0B0C5D86
	v_mul_f32_e32 v135, v135, v47                              // 0000000066D8: 0B0E5F87
	s_waitcnt vmcnt(8)                                         // 0000000066DC: BF8C0F78
	buffer_load_dwordx4 a[16:19], v35, s[12:15], 0 offen       // 0000000066E0: E05C1000 80831023
	v_mul_f32_e32 v44, v136, v136                              // 0000000066E8: 0A591188
	v_mul_f32_e32 v45, v137, v137                              // 0000000066EC: 0A5B1389
	v_mul_f32_e32 v46, v138, v138                              // 0000000066F0: 0A5D158A
	v_mul_f32_e32 v47, v139, v139                              // 0000000066F4: 0A5F178B
	v_fma_f32 v44, v44, s77, v1                                // 0000000066F8: D1CB002C 04049B2C
	v_fma_f32 v45, v45, s77, v1                                // 000000006700: D1CB002D 04049B2D
	v_fma_f32 v46, v46, s77, v1                                // 000000006708: D1CB002E 04049B2E
	v_fma_f32 v47, v47, s77, v1                                // 000000006710: D1CB002F 04049B2F
	v_mul_f32_e32 v44, v44, v136                               // 000000006718: 0A59112C
	v_mul_f32_e32 v45, v45, v137                               // 00000000671C: 0A5B132D
	v_mul_f32_e32 v46, v46, v138                               // 000000006720: 0A5D152E
	v_mul_f32_e32 v47, v47, v139                               // 000000006724: 0A5F172F
	v_mul_f32_e64 v44, v44, s6                                 // 000000006728: D105002C 00000D2C
	v_mul_f32_e64 v45, v45, s6                                 // 000000006730: D105002D 00000D2D
	v_mul_f32_e64 v46, v46, s6                                 // 000000006738: D105002E 00000D2E
	v_mul_f32_e64 v47, v47, s6                                 // 000000006740: D105002F 00000D2F
	v_exp_f32_e32 v44, v44                                     // 000000006748: 7E58412C
	v_exp_f32_e32 v45, v45                                     // 00000000674C: 7E5A412D
	v_exp_f32_e32 v46, v46                                     // 000000006750: 7E5C412E
	v_exp_f32_e32 v47, v47                                     // 000000006754: 7E5E412F
	buffer_load_dwordx4 a[20:23], v36, s[12:15], 0 offen       // 000000006758: E05C1000 80831424
	v_add_f32_e64 v44, v44, 1.0                                // 000000006760: D101002C 0001E52C
	v_add_f32_e64 v45, v45, 1.0                                // 000000006768: D101002D 0001E52D
	v_add_f32_e64 v46, v46, 1.0                                // 000000006770: D101002E 0001E52E
	v_add_f32_e64 v47, v47, 1.0                                // 000000006778: D101002F 0001E52F
	v_rcp_f32_e32 v44, v44                                     // 000000006780: 7E58452C
	v_rcp_f32_e32 v45, v45                                     // 000000006784: 7E5A452D
	v_rcp_f32_e32 v46, v46                                     // 000000006788: 7E5C452E
	v_rcp_f32_e32 v47, v47                                     // 00000000678C: 7E5E452F
	v_mul_f32_e32 v136, v136, v44                              // 000000006790: 0B105988
	v_mul_f32_e32 v137, v137, v45                              // 000000006794: 0B125B89
	v_mul_f32_e32 v138, v138, v46                              // 000000006798: 0B145D8A
	v_mul_f32_e32 v139, v139, v47                              // 00000000679C: 0B165F8B
	buffer_load_dwordx4 a[24:27], v37, s[12:15], 0 offen       // 0000000067A0: E05C1000 80831825
	v_mul_f32_e32 v44, v140, v140                              // 0000000067A8: 0A59198C
	v_mul_f32_e32 v45, v141, v141                              // 0000000067AC: 0A5B1B8D
	v_mul_f32_e32 v46, v142, v142                              // 0000000067B0: 0A5D1D8E
	v_mul_f32_e32 v47, v143, v143                              // 0000000067B4: 0A5F1F8F
	v_fma_f32 v44, v44, s77, v1                                // 0000000067B8: D1CB002C 04049B2C
	v_fma_f32 v45, v45, s77, v1                                // 0000000067C0: D1CB002D 04049B2D
	v_fma_f32 v46, v46, s77, v1                                // 0000000067C8: D1CB002E 04049B2E
	v_fma_f32 v47, v47, s77, v1                                // 0000000067D0: D1CB002F 04049B2F
	v_mul_f32_e32 v44, v44, v140                               // 0000000067D8: 0A59192C
	v_mul_f32_e32 v45, v45, v141                               // 0000000067DC: 0A5B1B2D
	v_mul_f32_e32 v46, v46, v142                               // 0000000067E0: 0A5D1D2E
	v_mul_f32_e32 v47, v47, v143                               // 0000000067E4: 0A5F1F2F
	v_mul_f32_e64 v44, v44, s6                                 // 0000000067E8: D105002C 00000D2C
	v_mul_f32_e64 v45, v45, s6                                 // 0000000067F0: D105002D 00000D2D
	v_mul_f32_e64 v46, v46, s6                                 // 0000000067F8: D105002E 00000D2E
	v_mul_f32_e64 v47, v47, s6                                 // 000000006800: D105002F 00000D2F
	v_exp_f32_e32 v44, v44                                     // 000000006808: 7E58412C
	v_exp_f32_e32 v45, v45                                     // 00000000680C: 7E5A412D
	v_exp_f32_e32 v46, v46                                     // 000000006810: 7E5C412E
	v_exp_f32_e32 v47, v47                                     // 000000006814: 7E5E412F
	buffer_load_dwordx4 a[28:31], v38, s[12:15], 0 offen       // 000000006818: E05C1000 80831C26
	s_add_u32 s12, s78, s12                                    // 000000006820: 800C0C4E
	s_addc_u32 s13, 0, s13                                     // 000000006824: 820D0D80
	v_add_f32_e64 v44, v44, 1.0                                // 000000006828: D101002C 0001E52C
	v_add_f32_e64 v45, v45, 1.0                                // 000000006830: D101002D 0001E52D
	v_add_f32_e64 v46, v46, 1.0                                // 000000006838: D101002E 0001E52E
	v_add_f32_e64 v47, v47, 1.0                                // 000000006840: D101002F 0001E52F
	v_rcp_f32_e32 v44, v44                                     // 000000006848: 7E58452C
	v_rcp_f32_e32 v45, v45                                     // 00000000684C: 7E5A452D
	v_rcp_f32_e32 v46, v46                                     // 000000006850: 7E5C452E
	v_rcp_f32_e32 v47, v47                                     // 000000006854: 7E5E452F
	v_mul_f32_e32 v140, v140, v44                              // 000000006858: 0B18598C
	v_mul_f32_e32 v141, v141, v45                              // 00000000685C: 0B1A5B8D
	v_mul_f32_e32 v142, v142, v46                              // 000000006860: 0B1C5D8E
	v_mul_f32_e32 v143, v143, v47                              // 000000006864: 0B1E5F8F
	s_waitcnt vmcnt(8)                                         // 000000006868: BF8C0F78
	buffer_load_dwordx4 a[32:35], v35, s[12:15], 0 offen       // 00000000686C: E05C1000 80832023
	v_mul_f32_e32 v44, v144, v144                              // 000000006874: 0A592190
	v_mul_f32_e32 v45, v145, v145                              // 000000006878: 0A5B2391
	v_mul_f32_e32 v46, v146, v146                              // 00000000687C: 0A5D2592
	v_mul_f32_e32 v47, v147, v147                              // 000000006880: 0A5F2793
	v_fma_f32 v44, v44, s77, v1                                // 000000006884: D1CB002C 04049B2C
	v_fma_f32 v45, v45, s77, v1                                // 00000000688C: D1CB002D 04049B2D
	v_fma_f32 v46, v46, s77, v1                                // 000000006894: D1CB002E 04049B2E
	v_fma_f32 v47, v47, s77, v1                                // 00000000689C: D1CB002F 04049B2F
	v_mul_f32_e32 v44, v44, v144                               // 0000000068A4: 0A59212C
	v_mul_f32_e32 v45, v45, v145                               // 0000000068A8: 0A5B232D
	v_mul_f32_e32 v46, v46, v146                               // 0000000068AC: 0A5D252E
	v_mul_f32_e32 v47, v47, v147                               // 0000000068B0: 0A5F272F
	v_mul_f32_e64 v44, v44, s6                                 // 0000000068B4: D105002C 00000D2C
	v_mul_f32_e64 v45, v45, s6                                 // 0000000068BC: D105002D 00000D2D
	v_mul_f32_e64 v46, v46, s6                                 // 0000000068C4: D105002E 00000D2E
	v_mul_f32_e64 v47, v47, s6                                 // 0000000068CC: D105002F 00000D2F
	v_exp_f32_e32 v44, v44                                     // 0000000068D4: 7E58412C
	v_exp_f32_e32 v45, v45                                     // 0000000068D8: 7E5A412D
	v_exp_f32_e32 v46, v46                                     // 0000000068DC: 7E5C412E
	v_exp_f32_e32 v47, v47                                     // 0000000068E0: 7E5E412F
	buffer_load_dwordx4 a[36:39], v36, s[12:15], 0 offen       // 0000000068E4: E05C1000 80832424
	v_add_f32_e64 v44, v44, 1.0                                // 0000000068EC: D101002C 0001E52C
	v_add_f32_e64 v45, v45, 1.0                                // 0000000068F4: D101002D 0001E52D
	v_add_f32_e64 v46, v46, 1.0                                // 0000000068FC: D101002E 0001E52E
	v_add_f32_e64 v47, v47, 1.0                                // 000000006904: D101002F 0001E52F
	v_rcp_f32_e32 v44, v44                                     // 00000000690C: 7E58452C
	v_rcp_f32_e32 v45, v45                                     // 000000006910: 7E5A452D
	v_rcp_f32_e32 v46, v46                                     // 000000006914: 7E5C452E
	v_rcp_f32_e32 v47, v47                                     // 000000006918: 7E5E452F
	v_mul_f32_e32 v144, v144, v44                              // 00000000691C: 0B205990
	v_mul_f32_e32 v145, v145, v45                              // 000000006920: 0B225B91
	v_mul_f32_e32 v146, v146, v46                              // 000000006924: 0B245D92
	v_mul_f32_e32 v147, v147, v47                              // 000000006928: 0B265F93
	buffer_load_dwordx4 a[40:43], v37, s[12:15], 0 offen       // 00000000692C: E05C1000 80832825
	v_mul_f32_e32 v44, v148, v148                              // 000000006934: 0A592994
	v_mul_f32_e32 v45, v149, v149                              // 000000006938: 0A5B2B95
	v_mul_f32_e32 v46, v150, v150                              // 00000000693C: 0A5D2D96
	v_mul_f32_e32 v47, v151, v151                              // 000000006940: 0A5F2F97
	v_fma_f32 v44, v44, s77, v1                                // 000000006944: D1CB002C 04049B2C
	v_fma_f32 v45, v45, s77, v1                                // 00000000694C: D1CB002D 04049B2D
	v_fma_f32 v46, v46, s77, v1                                // 000000006954: D1CB002E 04049B2E
	v_fma_f32 v47, v47, s77, v1                                // 00000000695C: D1CB002F 04049B2F
	v_mul_f32_e32 v44, v44, v148                               // 000000006964: 0A59292C
	v_mul_f32_e32 v45, v45, v149                               // 000000006968: 0A5B2B2D
	v_mul_f32_e32 v46, v46, v150                               // 00000000696C: 0A5D2D2E
	v_mul_f32_e32 v47, v47, v151                               // 000000006970: 0A5F2F2F
	v_mul_f32_e64 v44, v44, s6                                 // 000000006974: D105002C 00000D2C
	v_mul_f32_e64 v45, v45, s6                                 // 00000000697C: D105002D 00000D2D
	v_mul_f32_e64 v46, v46, s6                                 // 000000006984: D105002E 00000D2E
	v_mul_f32_e64 v47, v47, s6                                 // 00000000698C: D105002F 00000D2F
	v_exp_f32_e32 v44, v44                                     // 000000006994: 7E58412C
	v_exp_f32_e32 v45, v45                                     // 000000006998: 7E5A412D
	v_exp_f32_e32 v46, v46                                     // 00000000699C: 7E5C412E
	v_exp_f32_e32 v47, v47                                     // 0000000069A0: 7E5E412F
	buffer_load_dwordx4 a[44:47], v38, s[12:15], 0 offen       // 0000000069A4: E05C1000 80832C26
	v_add_f32_e64 v44, v44, 1.0                                // 0000000069AC: D101002C 0001E52C
	v_add_f32_e64 v45, v45, 1.0                                // 0000000069B4: D101002D 0001E52D
	v_add_f32_e64 v46, v46, 1.0                                // 0000000069BC: D101002E 0001E52E
	v_add_f32_e64 v47, v47, 1.0                                // 0000000069C4: D101002F 0001E52F
	v_rcp_f32_e32 v44, v44                                     // 0000000069CC: 7E58452C
	v_rcp_f32_e32 v45, v45                                     // 0000000069D0: 7E5A452D
	v_rcp_f32_e32 v46, v46                                     // 0000000069D4: 7E5C452E
	v_rcp_f32_e32 v47, v47                                     // 0000000069D8: 7E5E452F
	v_mul_f32_e32 v148, v148, v44                              // 0000000069DC: 0B285994
	v_mul_f32_e32 v149, v149, v45                              // 0000000069E0: 0B2A5B95
	v_mul_f32_e32 v150, v150, v46                              // 0000000069E4: 0B2C5D96
	v_mul_f32_e32 v151, v151, v47                              // 0000000069E8: 0B2E5F97
	v_mul_f32_dpp v128, v16, v128 row_newbcast:0 row_mask:0xf bank_mask:0xf// 0000000069EC: 0B0100FA FF015010
	v_mul_f32_dpp v129, v16, v129 row_newbcast:1 row_mask:0xf bank_mask:0xf// 0000000069F4: 0B0302FA FF015110
	v_mul_f32_dpp v130, v16, v130 row_newbcast:2 row_mask:0xf bank_mask:0xf// 0000000069FC: 0B0504FA FF015210
	v_mul_f32_dpp v131, v16, v131 row_newbcast:3 row_mask:0xf bank_mask:0xf// 000000006A04: 0B0706FA FF015310
	v_mul_f32_dpp v132, v16, v132 row_newbcast:0 row_mask:0xf bank_mask:0xf// 000000006A0C: 0B0908FA FF015010
	v_mul_f32_dpp v133, v16, v133 row_newbcast:1 row_mask:0xf bank_mask:0xf// 000000006A14: 0B0B0AFA FF015110
	v_mul_f32_dpp v134, v16, v134 row_newbcast:2 row_mask:0xf bank_mask:0xf// 000000006A1C: 0B0D0CFA FF015210
	v_mul_f32_dpp v135, v16, v135 row_newbcast:3 row_mask:0xf bank_mask:0xf// 000000006A24: 0B0F0EFA FF015310
	v_mul_f32_dpp v136, v16, v136 row_newbcast:4 row_mask:0xf bank_mask:0xf// 000000006A2C: 0B1110FA FF015410
	v_mul_f32_dpp v137, v16, v137 row_newbcast:5 row_mask:0xf bank_mask:0xf// 000000006A34: 0B1312FA FF015510
	v_mul_f32_dpp v138, v16, v138 row_newbcast:6 row_mask:0xf bank_mask:0xf// 000000006A3C: 0B1514FA FF015610
	v_mul_f32_dpp v139, v16, v139 row_newbcast:7 row_mask:0xf bank_mask:0xf// 000000006A44: 0B1716FA FF015710
	v_mul_f32_dpp v140, v16, v140 row_newbcast:4 row_mask:0xf bank_mask:0xf// 000000006A4C: 0B1918FA FF015410
	v_mul_f32_dpp v141, v16, v141 row_newbcast:5 row_mask:0xf bank_mask:0xf// 000000006A54: 0B1B1AFA FF015510
	v_mul_f32_dpp v142, v16, v142 row_newbcast:6 row_mask:0xf bank_mask:0xf// 000000006A5C: 0B1D1CFA FF015610
	v_mul_f32_dpp v143, v16, v143 row_newbcast:7 row_mask:0xf bank_mask:0xf// 000000006A64: 0B1F1EFA FF015710
	v_mul_f32_dpp v144, v16, v144 row_newbcast:8 row_mask:0xf bank_mask:0xf// 000000006A6C: 0B2120FA FF015810
	v_mul_f32_dpp v145, v16, v145 row_newbcast:9 row_mask:0xf bank_mask:0xf// 000000006A74: 0B2322FA FF015910
	v_mul_f32_dpp v146, v16, v146 row_newbcast:10 row_mask:0xf bank_mask:0xf// 000000006A7C: 0B2524FA FF015A10
	v_mul_f32_dpp v147, v16, v147 row_newbcast:11 row_mask:0xf bank_mask:0xf// 000000006A84: 0B2726FA FF015B10
	v_mul_f32_dpp v148, v16, v148 row_newbcast:8 row_mask:0xf bank_mask:0xf// 000000006A8C: 0B2928FA FF015810
	v_mul_f32_dpp v149, v16, v149 row_newbcast:9 row_mask:0xf bank_mask:0xf// 000000006A94: 0B2B2AFA FF015910
	v_mul_f32_dpp v150, v16, v150 row_newbcast:10 row_mask:0xf bank_mask:0xf// 000000006A9C: 0B2D2CFA FF015A10
	v_mul_f32_dpp v151, v16, v151 row_newbcast:11 row_mask:0xf bank_mask:0xf// 000000006AA4: 0B2F2EFA FF015B10
	buffer_load_dword v11, v5, s[16:19], 0 offen               // 000000006AAC: E0501000 80040B05
	v_mov_b32_e32 v20, 0x358637bd                              // 000000006AB4: 7E2802FF 358637BD
	v_mov_b32_e32 v21, 0x358637bd                              // 000000006ABC: 7E2A02FF 358637BD
	v_max3_f32 v20, |v128|, |v129|, v20                        // 000000006AC4: D1D30314 04530380
	v_max3_f32 v20, |v130|, |v131|, v20                        // 000000006ACC: D1D30314 04530782
	v_max3_f32 v21, |v132|, |v133|, v21                        // 000000006AD4: D1D30315 04570B84
	v_max3_f32 v21, |v134|, |v135|, v21                        // 000000006ADC: D1D30315 04570F86
	v_max3_f32 v20, |v136|, |v137|, v20                        // 000000006AE4: D1D30314 04531388
	v_max3_f32 v20, |v138|, |v139|, v20                        // 000000006AEC: D1D30314 0453178A
	v_max3_f32 v21, |v140|, |v141|, v21                        // 000000006AF4: D1D30315 04571B8C
	v_max3_f32 v21, |v142|, |v143|, v21                        // 000000006AFC: D1D30315 04571F8E
	v_max3_f32 v20, |v144|, |v145|, v20                        // 000000006B04: D1D30314 04532390
	v_max3_f32 v20, |v146|, |v147|, v20                        // 000000006B0C: D1D30314 04532792
	v_max3_f32 v21, |v148|, |v149|, v21                        // 000000006B14: D1D30315 04572B94
	v_max3_f32 v21, |v150|, |v151|, v21                        // 000000006B1C: D1D30315 04572F96
	v_lshlrev_b32_e32 v44, 3, v0                               // 000000006B24: 24580083
	s_mul_i32 s60, 0x200, s7                                   // 000000006B28: 923C07FF 00000200
	v_add_u32_e32 v44, s60, v44                                // 000000006B30: 6858583C
	ds_write_b64 v44, v[20:21] offset:16640                    // 000000006B34: D89A4100 0000142C
	s_waitcnt lgkmcnt(0)                                       // 000000006B3C: BF8CC07F
	s_barrier                                                  // 000000006B40: BF8A0000
	v_and_b32_e32 v44, 15, v0                                  // 000000006B44: 2658008F
	v_lshlrev_b32_e32 v44, 3, v44                              // 000000006B48: 24585883
	ds_read_b64 v[96:97], v44 offset:16640                     // 000000006B4C: D8EC4100 6000002C
	ds_read_b64 v[98:99], v44 offset:16768                     // 000000006B54: D8EC4180 6200002C
	ds_read_b64 v[100:101], v44 offset:16896                   // 000000006B5C: D8EC4200 6400002C
	ds_read_b64 v[102:103], v44 offset:17024                   // 000000006B64: D8EC4280 6600002C
	ds_read_b64 v[104:105], v44 offset:17152                   // 000000006B6C: D8EC4300 6800002C
	ds_read_b64 v[106:107], v44 offset:17280                   // 000000006B74: D8EC4380 6A00002C
	ds_read_b64 v[108:109], v44 offset:17408                   // 000000006B7C: D8EC4400 6C00002C
	ds_read_b64 v[110:111], v44 offset:17536                   // 000000006B84: D8EC4480 6E00002C
	ds_read_b64 v[112:113], v44 offset:17664                   // 000000006B8C: D8EC4500 7000002C
	ds_read_b64 v[114:115], v44 offset:17792                   // 000000006B94: D8EC4580 7200002C
	ds_read_b64 v[116:117], v44 offset:17920                   // 000000006B9C: D8EC4600 7400002C
	ds_read_b64 v[118:119], v44 offset:18048                   // 000000006BA4: D8EC4680 7600002C
	ds_read_b64 v[120:121], v44 offset:18176                   // 000000006BAC: D8EC4700 7800002C
	ds_read_b64 v[122:123], v44 offset:18304                   // 000000006BB4: D8EC4780 7A00002C
	ds_read_b64 v[124:125], v44 offset:18432                   // 000000006BBC: D8EC4800 7C00002C
	ds_read_b64 v[126:127], v44 offset:18560                   // 000000006BC4: D8EC4880 7E00002C
	s_waitcnt lgkmcnt(0)                                       // 000000006BCC: BF8CC07F
	v_max3_f32 v20, |v96|, |v98|, v20                          // 000000006BD0: D1D30314 0452C560
	v_max3_f32 v21, |v97|, |v99|, v21                          // 000000006BD8: D1D30315 0456C761
	v_max3_f32 v20, |v100|, |v102|, v20                        // 000000006BE0: D1D30314 0452CD64
	v_max3_f32 v21, |v101|, |v103|, v21                        // 000000006BE8: D1D30315 0456CF65
	v_max3_f32 v20, |v104|, |v106|, v20                        // 000000006BF0: D1D30314 0452D568
	v_max3_f32 v21, |v105|, |v107|, v21                        // 000000006BF8: D1D30315 0456D769
	v_max3_f32 v20, |v108|, |v110|, v20                        // 000000006C00: D1D30314 0452DD6C
	v_max3_f32 v21, |v109|, |v111|, v21                        // 000000006C08: D1D30315 0456DF6D
	v_max3_f32 v20, |v112|, |v114|, v20                        // 000000006C10: D1D30314 0452E570
	v_max3_f32 v21, |v113|, |v115|, v21                        // 000000006C18: D1D30315 0456E771
	v_max3_f32 v20, |v116|, |v118|, v20                        // 000000006C20: D1D30314 0452ED74
	v_max3_f32 v21, |v117|, |v119|, v21                        // 000000006C28: D1D30315 0456EF75
	v_max3_f32 v20, |v120|, |v122|, v20                        // 000000006C30: D1D30314 0452F578
	v_max3_f32 v21, |v121|, |v123|, v21                        // 000000006C38: D1D30315 0456F779
	v_max3_f32 v20, |v124|, |v126|, v20                        // 000000006C40: D1D30314 0452FD7C
	v_max3_f32 v21, |v125|, |v127|, v21                        // 000000006C48: D1D30315 0456FF7D
	v_rcp_f32_e32 v20, v20                                     // 000000006C50: 7E284514
	v_rcp_f32_e32 v21, v21                                     // 000000006C54: 7E2A4515
	v_mul_f32_e32 v20, 0x42fe0000, v20                         // 000000006C58: 0A2828FF 42FE0000
	v_mul_f32_e32 v21, 0x42fe0000, v21                         // 000000006C60: 0A2A2AFF 42FE0000
	v_mul_f32_e32 v128, v20, v128                              // 000000006C68: 0B010114
	v_mul_f32_e32 v129, v20, v129                              // 000000006C6C: 0B030314
	v_mul_f32_e32 v130, v20, v130                              // 000000006C70: 0B050514
	v_mul_f32_e32 v131, v20, v131                              // 000000006C74: 0B070714
	v_cvt_i32_f32_e32 v128, v128                               // 000000006C78: 7F001180
	v_cvt_i32_f32_e32 v129, v129                               // 000000006C7C: 7F021181
	v_cvt_i32_f32_e32 v130, v130                               // 000000006C80: 7F041182
	v_cvt_i32_f32_e32 v131, v131                               // 000000006C84: 7F061183
	v_perm_b32 v128, v129, v128, s53                           // 000000006C88: D1ED0080 00D70181
	v_perm_b32 v128, v130, v128, s54                           // 000000006C90: D1ED0080 00DB0182
	v_perm_b32 v128, v131, v128, s55                           // 000000006C98: D1ED0080 00DF0183
	v_mul_f32_e32 v132, v21, v132                              // 000000006CA0: 0B090915
	v_mul_f32_e32 v133, v21, v133                              // 000000006CA4: 0B0B0B15
	v_mul_f32_e32 v134, v21, v134                              // 000000006CA8: 0B0D0D15
	v_mul_f32_e32 v135, v21, v135                              // 000000006CAC: 0B0F0F15
	v_cvt_i32_f32_e32 v132, v132                               // 000000006CB0: 7F081184
	v_cvt_i32_f32_e32 v133, v133                               // 000000006CB4: 7F0A1185
	v_cvt_i32_f32_e32 v134, v134                               // 000000006CB8: 7F0C1186
	v_cvt_i32_f32_e32 v135, v135                               // 000000006CBC: 7F0E1187
	v_perm_b32 v129, v133, v132, s53                           // 000000006CC0: D1ED0081 00D70985
	v_perm_b32 v129, v134, v129, s54                           // 000000006CC8: D1ED0081 00DB0386
	v_perm_b32 v129, v135, v129, s55                           // 000000006CD0: D1ED0081 00DF0387
	v_mul_f32_e32 v136, v20, v136                              // 000000006CD8: 0B111114
	v_mul_f32_e32 v137, v20, v137                              // 000000006CDC: 0B131314
	v_mul_f32_e32 v138, v20, v138                              // 000000006CE0: 0B151514
	v_mul_f32_e32 v139, v20, v139                              // 000000006CE4: 0B171714
	v_cvt_i32_f32_e32 v136, v136                               // 000000006CE8: 7F101188
	v_cvt_i32_f32_e32 v137, v137                               // 000000006CEC: 7F121189
	v_cvt_i32_f32_e32 v138, v138                               // 000000006CF0: 7F14118A
	v_cvt_i32_f32_e32 v139, v139                               // 000000006CF4: 7F16118B
	v_perm_b32 v130, v137, v136, s53                           // 000000006CF8: D1ED0082 00D71189
	v_perm_b32 v130, v138, v130, s54                           // 000000006D00: D1ED0082 00DB058A
	v_perm_b32 v130, v139, v130, s55                           // 000000006D08: D1ED0082 00DF058B
	v_mul_f32_e32 v140, v21, v140                              // 000000006D10: 0B191915
	v_mul_f32_e32 v141, v21, v141                              // 000000006D14: 0B1B1B15
	v_mul_f32_e32 v142, v21, v142                              // 000000006D18: 0B1D1D15
	v_mul_f32_e32 v143, v21, v143                              // 000000006D1C: 0B1F1F15
	v_cvt_i32_f32_e32 v140, v140                               // 000000006D20: 7F18118C
	v_cvt_i32_f32_e32 v141, v141                               // 000000006D24: 7F1A118D
	v_cvt_i32_f32_e32 v142, v142                               // 000000006D28: 7F1C118E
	v_cvt_i32_f32_e32 v143, v143                               // 000000006D2C: 7F1E118F
	v_perm_b32 v131, v141, v140, s53                           // 000000006D30: D1ED0083 00D7198D
	v_perm_b32 v131, v142, v131, s54                           // 000000006D38: D1ED0083 00DB078E
	v_perm_b32 v131, v143, v131, s55                           // 000000006D40: D1ED0083 00DF078F
	v_mul_f32_e32 v144, v20, v144                              // 000000006D48: 0B212114
	v_mul_f32_e32 v145, v20, v145                              // 000000006D4C: 0B232314
	v_mul_f32_e32 v146, v20, v146                              // 000000006D50: 0B252514
	v_mul_f32_e32 v147, v20, v147                              // 000000006D54: 0B272714
	v_cvt_i32_f32_e32 v144, v144                               // 000000006D58: 7F201190
	v_cvt_i32_f32_e32 v145, v145                               // 000000006D5C: 7F221191
	v_cvt_i32_f32_e32 v146, v146                               // 000000006D60: 7F241192
	v_cvt_i32_f32_e32 v147, v147                               // 000000006D64: 7F261193
	v_perm_b32 v132, v145, v144, s53                           // 000000006D68: D1ED0084 00D72191
	v_perm_b32 v132, v146, v132, s54                           // 000000006D70: D1ED0084 00DB0992
	v_perm_b32 v132, v147, v132, s55                           // 000000006D78: D1ED0084 00DF0993
	v_mul_f32_e32 v148, v21, v148                              // 000000006D80: 0B292915
	v_mul_f32_e32 v149, v21, v149                              // 000000006D84: 0B2B2B15
	v_mul_f32_e32 v150, v21, v150                              // 000000006D88: 0B2D2D15
	v_mul_f32_e32 v151, v21, v151                              // 000000006D8C: 0B2F2F15
	v_cvt_i32_f32_e32 v148, v148                               // 000000006D90: 7F281194
	v_cvt_i32_f32_e32 v149, v149                               // 000000006D94: 7F2A1195
	v_cvt_i32_f32_e32 v150, v150                               // 000000006D98: 7F2C1196
	v_cvt_i32_f32_e32 v151, v151                               // 000000006D9C: 7F2E1197
	v_perm_b32 v133, v149, v148, s53                           // 000000006DA0: D1ED0085 00D72995
	v_perm_b32 v133, v150, v133, s54                           // 000000006DA8: D1ED0085 00DB0B96
	v_perm_b32 v133, v151, v133, s55                           // 000000006DB0: D1ED0085 00DF0B97
	v_rcp_f32_e32 v22, v20                                     // 000000006DB8: 7E2C4514
	v_rcp_f32_e32 v23, v21                                     // 000000006DBC: 7E2E4515
	v_lshrrev_b32_e32 v44, 5, v0                               // 000000006DC0: 20580085
	v_lshlrev_b32_e32 v45, 5, v44                              // 000000006DC4: 245A5885
	v_and_b32_e32 v44, 31, v0                                  // 000000006DC8: 2658009F
	v_lshrrev_b32_e32 v46, 4, v44                              // 000000006DCC: 205C5884
	v_add_u32_e32 v45, v46, v45                                // 000000006DD0: 685A5B2E
	v_and_b32_e32 v44, 15, v0                                  // 000000006DD4: 2658008F
	v_lshlrev_b32_e32 v44, 1, v44                              // 000000006DD8: 24585881
	v_add_u32_e32 v45, v44, v45                                // 000000006DDC: 685A5B2C
	v_lshlrev_b32_e32 v44, 2, v45                              // 000000006DE0: 24585A82
	s_mul_i32 s60, 0x100, s7                                   // 000000006DE4: 923C07FF 00000100
	v_add_u32_e64 v44, v44, s60                                // 000000006DEC: D134002C 0000792C
	ds_write_b32 v44, v128 offset:18688                        // 000000006DF4: D81A4900 0000802C
	ds_write_b32 v44, v129 offset:21760                        // 000000006DFC: D81A5500 0000812C
	ds_write_b32 v44, v130 offset:19712                        // 000000006E04: D81A4D00 0000822C
	ds_write_b32 v44, v131 offset:22784                        // 000000006E0C: D81A5900 0000832C
	ds_write_b32 v44, v132 offset:20736                        // 000000006E14: D81A5100 0000842C
	ds_write_b32 v44, v133 offset:23808                        // 000000006E1C: D81A5D00 0000852C
	s_waitcnt lgkmcnt(0)                                       // 000000006E24: BF8CC07F
	s_barrier                                                  // 000000006E28: BF8A0000
	v_lshrrev_b32_e32 v44, 4, v0                               // 000000006E2C: 20580084
	v_lshlrev_b32_e32 v45, 6, v44                              // 000000006E30: 245A5886
	v_and_b32_e32 v44, 15, v0                                  // 000000006E34: 2658008F
	v_lshlrev_b32_e32 v44, 1, v44                              // 000000006E38: 24585881
	v_add_u32_e32 v45, v44, v45                                // 000000006E3C: 685A5B2C
	v_lshlrev_b32_e32 v44, 2, v45                              // 000000006E40: 24585A82
	ds_read_b64 v[128:129], v44 offset:18688                   // 000000006E44: D8EC4900 8000002C
	ds_read_b64 v[130:131], v44 offset:18816                   // 000000006E4C: D8EC4980 8200002C
	ds_read_b64 v[132:133], v44 offset:19712                   // 000000006E54: D8EC4D00 8400002C
	ds_read_b64 v[134:135], v44 offset:19840                   // 000000006E5C: D8EC4D80 8600002C
	ds_read_b64 v[136:137], v44 offset:20736                   // 000000006E64: D8EC5100 8800002C
	ds_read_b64 v[138:139], v44 offset:20864                   // 000000006E6C: D8EC5180 8A00002C
	ds_read_b64 v[140:141], v44 offset:21760                   // 000000006E74: D8EC5500 8C00002C
	ds_read_b64 v[142:143], v44 offset:21888                   // 000000006E7C: D8EC5580 8E00002C
	ds_read_b64 v[144:145], v44 offset:22784                   // 000000006E84: D8EC5900 9000002C
	ds_read_b64 v[146:147], v44 offset:22912                   // 000000006E8C: D8EC5980 9200002C
	ds_read_b64 v[148:149], v44 offset:23808                   // 000000006E94: D8EC5D00 9400002C
	ds_read_b64 v[150:151], v44 offset:23936                   // 000000006E9C: D8EC5D80 9600002C
	s_add_u32 s12, s56, s12                                    // 000000006EA4: 800C0C38
	s_addc_u32 s13, 0, s13                                     // 000000006EA8: 820D0D80
	s_add_u32 s16, s79, s16                                    // 000000006EAC: 8010104F
	s_addc_u32 s17, 0, s17                                     // 000000006EB0: 82111180
	s_mov_b32 s80, 0                                           // 000000006EB4: BED00080
	s_waitcnt vmcnt(0) expcnt(0) lgkmcnt(0)                    // 000000006EB8: BF8C0000

0000000000006ebc <label_102F>:
	s_waitcnt vmcnt(25)                                        // 000000006EBC: BF8C4F79
	s_barrier                                                  // 000000006EC0: BF8A0000
	v_mfma_i32_16x16x32_i8 v[152:155], a[0:1], v[128:129], 0   // 000000006EC4: D3D70098 0A030100
	buffer_load_dwordx4 a[48:51], v35, s[12:15], 0 offen       // 000000006ECC: E05C1000 80833023
	v_mfma_i32_16x16x32_i8 v[152:155], a[2:3], v[130:131], v[152:155]// 000000006ED4: D3D70098 0E630502
	v_mfma_i32_16x16x32_i8 v[156:159], a[0:1], v[140:141], 0   // 000000006EDC: D3D7009C 0A031900
	v_mfma_i32_16x16x32_i8 v[156:159], a[2:3], v[142:143], v[156:159]// 000000006EE4: D3D7009C 0E731D02
	v_mfma_i32_16x16x32_i8 v[160:163], a[4:5], v[128:129], 0   // 000000006EEC: D3D700A0 0A030104
	buffer_load_dwordx4 a[52:55], v36, s[12:15], 0 offen       // 000000006EF4: E05C1000 80833424
	v_mfma_i32_16x16x32_i8 v[160:163], a[6:7], v[130:131], v[160:163]// 000000006EFC: D3D700A0 0E830506
	v_mfma_i32_16x16x32_i8 v[164:167], a[4:5], v[140:141], 0   // 000000006F04: D3D700A4 0A031904
	v_mfma_i32_16x16x32_i8 v[164:167], a[6:7], v[142:143], v[164:167]// 000000006F0C: D3D700A4 0E931D06
	v_mfma_i32_16x16x32_i8 v[168:171], a[8:9], v[128:129], 0   // 000000006F14: D3D700A8 0A030108
	buffer_load_dwordx4 a[56:59], v37, s[12:15], 0 offen       // 000000006F1C: E05C1000 80833825
	v_mfma_i32_16x16x32_i8 v[168:171], a[10:11], v[130:131], v[168:171]// 000000006F24: D3D700A8 0EA3050A
	v_mfma_i32_16x16x32_i8 v[172:175], a[8:9], v[140:141], 0   // 000000006F2C: D3D700AC 0A031908
	v_mfma_i32_16x16x32_i8 v[172:175], a[10:11], v[142:143], v[172:175]// 000000006F34: D3D700AC 0EB31D0A
	v_mfma_i32_16x16x32_i8 v[176:179], a[12:13], v[128:129], 0 // 000000006F3C: D3D700B0 0A03010C
	buffer_load_dwordx4 a[60:63], v38, s[12:15], 0 offen       // 000000006F44: E05C1000 80833C26
	s_add_u32 s12, s78, s12                                    // 000000006F4C: 800C0C4E
	s_addc_u32 s13, 0, s13                                     // 000000006F50: 820D0D80
	v_mfma_i32_16x16x32_i8 v[176:179], a[14:15], v[130:131], v[176:179]// 000000006F54: D3D700B0 0EC3050E
	v_mfma_i32_16x16x32_i8 v[180:183], a[12:13], v[140:141], 0 // 000000006F5C: D3D700B4 0A03190C
	v_mfma_i32_16x16x32_i8 v[180:183], a[14:15], v[142:143], v[180:183]// 000000006F64: D3D700B4 0ED31D0E
	s_waitcnt vmcnt(25)                                        // 000000006F6C: BF8C4F79
	v_mfma_i32_16x16x32_i8 v[152:155], a[16:17], v[132:133], v[152:155]// 000000006F70: D3D70098 0E630910
	buffer_load_dwordx4 a[64:67], v35, s[12:15], 0 offen       // 000000006F78: E05C1000 80834023
	v_mfma_i32_16x16x32_i8 v[152:155], a[18:19], v[134:135], v[152:155]// 000000006F80: D3D70098 0E630D12
	v_mfma_i32_16x16x32_i8 v[156:159], a[16:17], v[144:145], v[156:159]// 000000006F88: D3D7009C 0E732110
	v_mfma_i32_16x16x32_i8 v[156:159], a[18:19], v[146:147], v[156:159]// 000000006F90: D3D7009C 0E732512
	v_mfma_i32_16x16x32_i8 v[160:163], a[20:21], v[132:133], v[160:163]// 000000006F98: D3D700A0 0E830914
	buffer_load_dwordx4 a[68:71], v36, s[12:15], 0 offen       // 000000006FA0: E05C1000 80834424
	v_mfma_i32_16x16x32_i8 v[160:163], a[22:23], v[134:135], v[160:163]// 000000006FA8: D3D700A0 0E830D16
	v_mfma_i32_16x16x32_i8 v[164:167], a[20:21], v[144:145], v[164:167]// 000000006FB0: D3D700A4 0E932114
	v_mfma_i32_16x16x32_i8 v[164:167], a[22:23], v[146:147], v[164:167]// 000000006FB8: D3D700A4 0E932516
	v_mfma_i32_16x16x32_i8 v[168:171], a[24:25], v[132:133], v[168:171]// 000000006FC0: D3D700A8 0EA30918
	buffer_load_dwordx4 a[72:75], v37, s[12:15], 0 offen       // 000000006FC8: E05C1000 80834825
	v_mfma_i32_16x16x32_i8 v[168:171], a[26:27], v[134:135], v[168:171]// 000000006FD0: D3D700A8 0EA30D1A
	v_mfma_i32_16x16x32_i8 v[172:175], a[24:25], v[144:145], v[172:175]// 000000006FD8: D3D700AC 0EB32118
	v_mfma_i32_16x16x32_i8 v[172:175], a[26:27], v[146:147], v[172:175]// 000000006FE0: D3D700AC 0EB3251A
	v_mfma_i32_16x16x32_i8 v[176:179], a[28:29], v[132:133], v[176:179]// 000000006FE8: D3D700B0 0EC3091C
	buffer_load_dwordx4 a[76:79], v38, s[12:15], 0 offen       // 000000006FF0: E05C1000 80834C26
	s_add_u32 s12, s78, s12                                    // 000000006FF8: 800C0C4E
	s_addc_u32 s13, 0, s13                                     // 000000006FFC: 820D0D80
	v_mfma_i32_16x16x32_i8 v[176:179], a[30:31], v[134:135], v[176:179]// 000000007000: D3D700B0 0EC30D1E
	v_mfma_i32_16x16x32_i8 v[180:183], a[28:29], v[144:145], v[180:183]// 000000007008: D3D700B4 0ED3211C
	v_mfma_i32_16x16x32_i8 v[180:183], a[30:31], v[146:147], v[180:183]// 000000007010: D3D700B4 0ED3251E
	s_waitcnt vmcnt(24)                                        // 000000007018: BF8C4F78
	v_mfma_i32_16x16x32_i8 v[152:155], a[32:33], v[136:137], v[152:155]// 00000000701C: D3D70098 0E631120
	buffer_load_dwordx4 a[80:83], v35, s[12:15], 0 offen       // 000000007024: E05C1000 80835023
	v_mfma_i32_16x16x32_i8 v[152:155], a[34:35], v[138:139], v[152:155]// 00000000702C: D3D70098 0E631522
	v_mfma_i32_16x16x32_i8 v[156:159], a[32:33], v[148:149], v[156:159]// 000000007034: D3D7009C 0E732920
	buffer_load_dword v12, v5, s[16:19], 0 offen               // 00000000703C: E0501000 80040C05
	v_mfma_i32_16x16x32_i8 v[156:159], a[34:35], v[150:151], v[156:159]// 000000007044: D3D7009C 0E732D22
	v_mfma_i32_16x16x32_i8 v[160:163], a[36:37], v[136:137], v[160:163]// 00000000704C: D3D700A0 0E831124
	buffer_load_dwordx4 a[84:87], v36, s[12:15], 0 offen       // 000000007054: E05C1000 80835424
	v_mfma_i32_16x16x32_i8 v[160:163], a[38:39], v[138:139], v[160:163]// 00000000705C: D3D700A0 0E831526
	v_mfma_i32_16x16x32_i8 v[164:167], a[36:37], v[148:149], v[164:167]// 000000007064: D3D700A4 0E932924
	v_mfma_i32_16x16x32_i8 v[164:167], a[38:39], v[150:151], v[164:167]// 00000000706C: D3D700A4 0E932D26
	v_mfma_i32_16x16x32_i8 v[168:171], a[40:41], v[136:137], v[168:171]// 000000007074: D3D700A8 0EA31128
	buffer_load_dwordx4 a[88:91], v37, s[12:15], 0 offen       // 00000000707C: E05C1000 80835825
	v_mfma_i32_16x16x32_i8 v[168:171], a[42:43], v[138:139], v[168:171]// 000000007084: D3D700A8 0EA3152A
	v_mfma_i32_16x16x32_i8 v[172:175], a[40:41], v[148:149], v[172:175]// 00000000708C: D3D700AC 0EB32928
	v_mfma_i32_16x16x32_i8 v[172:175], a[42:43], v[150:151], v[172:175]// 000000007094: D3D700AC 0EB32D2A
	v_mfma_i32_16x16x32_i8 v[176:179], a[44:45], v[136:137], v[176:179]// 00000000709C: D3D700B0 0EC3112C
	buffer_load_dwordx4 a[92:95], v38, s[12:15], 0 offen       // 0000000070A4: E05C1000 80835C26
	v_mfma_i32_16x16x32_i8 v[176:179], a[46:47], v[138:139], v[176:179]// 0000000070AC: D3D700B0 0EC3152E
	v_mfma_i32_16x16x32_i8 v[180:183], a[44:45], v[148:149], v[180:183]// 0000000070B4: D3D700B4 0ED3292C
	v_mfma_i32_16x16x32_i8 v[180:183], a[46:47], v[150:151], v[180:183]// 0000000070BC: D3D700B4 0ED32D2E
	s_add_u32 s60, 0x200, s80                                  // 0000000070C4: 803C50FF 00000200
	s_cmp_lt_u32 s60, s81                                      // 0000000070CC: BF0A513C
	s_cselect_b32 s56, s56, 0                                  // 0000000070D0: 85388038
	s_cselect_b32 s78, s78, 0                                  // 0000000070D4: 854E804E
	s_cselect_b32 s79, s79, 0                                  // 0000000070D8: 854F804F
	s_add_u32 s12, s56, s12                                    // 0000000070DC: 800C0C38
	s_addc_u32 s13, 0, s13                                     // 0000000070E0: 820D0D80
	s_add_u32 s16, s79, s16                                    // 0000000070E4: 8010104F
	s_addc_u32 s17, 0, s17                                     // 0000000070E8: 82111180
	v_cvt_f32_i32_e32 v152, v152                               // 0000000070EC: 7F300B98
	v_cvt_f32_i32_e32 v153, v153                               // 0000000070F0: 7F320B99
	v_cvt_f32_i32_e32 v154, v154                               // 0000000070F4: 7F340B9A
	v_cvt_f32_i32_e32 v155, v155                               // 0000000070F8: 7F360B9B
	v_mul_f32_e32 v152, v22, v152                              // 0000000070FC: 0B313116
	v_mul_f32_e32 v153, v22, v153                              // 000000007100: 0B333316
	v_mul_f32_e32 v154, v22, v154                              // 000000007104: 0B353516
	v_mul_f32_e32 v155, v22, v155                              // 000000007108: 0B373716
	v_mul_f32_dpp v152, v11, v152 row_newbcast:0 row_mask:0xf bank_mask:0xf// 00000000710C: 0B3130FA FF01500B
	v_mul_f32_dpp v153, v11, v153 row_newbcast:1 row_mask:0xf bank_mask:0xf// 000000007114: 0B3332FA FF01510B
	v_mul_f32_dpp v154, v11, v154 row_newbcast:2 row_mask:0xf bank_mask:0xf// 00000000711C: 0B3534FA FF01520B
	v_mul_f32_dpp v155, v11, v155 row_newbcast:3 row_mask:0xf bank_mask:0xf// 000000007124: 0B3736FA FF01530B
	v_mul_f32_e32 v152, v17, v152                              // 00000000712C: 0B313111
	v_mul_f32_e32 v153, v17, v153                              // 000000007130: 0B333311
	v_mul_f32_e32 v154, v17, v154                              // 000000007134: 0B353511
	v_mul_f32_e32 v155, v17, v155                              // 000000007138: 0B373711
	v_cvt_f32_i32_e32 v156, v156                               // 00000000713C: 7F380B9C
	v_cvt_f32_i32_e32 v157, v157                               // 000000007140: 7F3A0B9D
	v_cvt_f32_i32_e32 v158, v158                               // 000000007144: 7F3C0B9E
	v_cvt_f32_i32_e32 v159, v159                               // 000000007148: 7F3E0B9F
	v_mul_f32_e32 v156, v23, v156                              // 00000000714C: 0B393917
	v_mul_f32_e32 v157, v23, v157                              // 000000007150: 0B3B3B17
	v_mul_f32_e32 v158, v23, v158                              // 000000007154: 0B3D3D17
	v_mul_f32_e32 v159, v23, v159                              // 000000007158: 0B3F3F17
	v_mul_f32_dpp v156, v11, v156 row_newbcast:0 row_mask:0xf bank_mask:0xf// 00000000715C: 0B3938FA FF01500B
	v_mul_f32_dpp v157, v11, v157 row_newbcast:1 row_mask:0xf bank_mask:0xf// 000000007164: 0B3B3AFA FF01510B
	v_mul_f32_dpp v158, v11, v158 row_newbcast:2 row_mask:0xf bank_mask:0xf// 00000000716C: 0B3D3CFA FF01520B
	v_mul_f32_dpp v159, v11, v159 row_newbcast:3 row_mask:0xf bank_mask:0xf// 000000007174: 0B3F3EFA FF01530B
	v_mul_f32_e32 v156, v18, v156                              // 00000000717C: 0B393912
	v_mul_f32_e32 v157, v18, v157                              // 000000007180: 0B3B3B12
	v_mul_f32_e32 v158, v18, v158                              // 000000007184: 0B3D3D12
	v_mul_f32_e32 v159, v18, v159                              // 000000007188: 0B3F3F12
	v_cvt_f32_i32_e32 v160, v160                               // 00000000718C: 7F400BA0
	v_cvt_f32_i32_e32 v161, v161                               // 000000007190: 7F420BA1
	v_cvt_f32_i32_e32 v162, v162                               // 000000007194: 7F440BA2
	v_cvt_f32_i32_e32 v163, v163                               // 000000007198: 7F460BA3
	v_mul_f32_e32 v160, v22, v160                              // 00000000719C: 0B414116
	v_mul_f32_e32 v161, v22, v161                              // 0000000071A0: 0B434316
	v_mul_f32_e32 v162, v22, v162                              // 0000000071A4: 0B454516
	v_mul_f32_e32 v163, v22, v163                              // 0000000071A8: 0B474716
	v_mul_f32_dpp v160, v11, v160 row_newbcast:4 row_mask:0xf bank_mask:0xf// 0000000071AC: 0B4140FA FF01540B
	v_mul_f32_dpp v161, v11, v161 row_newbcast:5 row_mask:0xf bank_mask:0xf// 0000000071B4: 0B4342FA FF01550B
	v_mul_f32_dpp v162, v11, v162 row_newbcast:6 row_mask:0xf bank_mask:0xf// 0000000071BC: 0B4544FA FF01560B
	v_mul_f32_dpp v163, v11, v163 row_newbcast:7 row_mask:0xf bank_mask:0xf// 0000000071C4: 0B4746FA FF01570B
	v_mul_f32_e32 v160, v17, v160                              // 0000000071CC: 0B414111
	v_mul_f32_e32 v161, v17, v161                              // 0000000071D0: 0B434311
	v_mul_f32_e32 v162, v17, v162                              // 0000000071D4: 0B454511
	v_mul_f32_e32 v163, v17, v163                              // 0000000071D8: 0B474711
	v_cvt_f32_i32_e32 v164, v164                               // 0000000071DC: 7F480BA4
	v_cvt_f32_i32_e32 v165, v165                               // 0000000071E0: 7F4A0BA5
	v_cvt_f32_i32_e32 v166, v166                               // 0000000071E4: 7F4C0BA6
	v_cvt_f32_i32_e32 v167, v167                               // 0000000071E8: 7F4E0BA7
	v_mul_f32_e32 v164, v23, v164                              // 0000000071EC: 0B494917
	v_mul_f32_e32 v165, v23, v165                              // 0000000071F0: 0B4B4B17
	v_mul_f32_e32 v166, v23, v166                              // 0000000071F4: 0B4D4D17
	v_mul_f32_e32 v167, v23, v167                              // 0000000071F8: 0B4F4F17
	v_mul_f32_dpp v164, v11, v164 row_newbcast:4 row_mask:0xf bank_mask:0xf// 0000000071FC: 0B4948FA FF01540B
	v_mul_f32_dpp v165, v11, v165 row_newbcast:5 row_mask:0xf bank_mask:0xf// 000000007204: 0B4B4AFA FF01550B
	v_mul_f32_dpp v166, v11, v166 row_newbcast:6 row_mask:0xf bank_mask:0xf// 00000000720C: 0B4D4CFA FF01560B
	v_mul_f32_dpp v167, v11, v167 row_newbcast:7 row_mask:0xf bank_mask:0xf// 000000007214: 0B4F4EFA FF01570B
	v_mul_f32_e32 v164, v18, v164                              // 00000000721C: 0B494912
	v_mul_f32_e32 v165, v18, v165                              // 000000007220: 0B4B4B12
	v_mul_f32_e32 v166, v18, v166                              // 000000007224: 0B4D4D12
	v_mul_f32_e32 v167, v18, v167                              // 000000007228: 0B4F4F12
	v_cvt_f32_i32_e32 v168, v168                               // 00000000722C: 7F500BA8
	v_cvt_f32_i32_e32 v169, v169                               // 000000007230: 7F520BA9
	v_cvt_f32_i32_e32 v170, v170                               // 000000007234: 7F540BAA
	v_cvt_f32_i32_e32 v171, v171                               // 000000007238: 7F560BAB
	v_mul_f32_e32 v168, v22, v168                              // 00000000723C: 0B515116
	v_mul_f32_e32 v169, v22, v169                              // 000000007240: 0B535316
	v_mul_f32_e32 v170, v22, v170                              // 000000007244: 0B555516
	v_mul_f32_e32 v171, v22, v171                              // 000000007248: 0B575716
	v_mul_f32_dpp v168, v11, v168 row_newbcast:8 row_mask:0xf bank_mask:0xf// 00000000724C: 0B5150FA FF01580B
	v_mul_f32_dpp v169, v11, v169 row_newbcast:9 row_mask:0xf bank_mask:0xf// 000000007254: 0B5352FA FF01590B
	v_mul_f32_dpp v170, v11, v170 row_newbcast:10 row_mask:0xf bank_mask:0xf// 00000000725C: 0B5554FA FF015A0B
	v_mul_f32_dpp v171, v11, v171 row_newbcast:11 row_mask:0xf bank_mask:0xf// 000000007264: 0B5756FA FF015B0B
	v_mul_f32_e32 v168, v17, v168                              // 00000000726C: 0B515111
	v_mul_f32_e32 v169, v17, v169                              // 000000007270: 0B535311
	v_mul_f32_e32 v170, v17, v170                              // 000000007274: 0B555511
	v_mul_f32_e32 v171, v17, v171                              // 000000007278: 0B575711
	v_cvt_f32_i32_e32 v172, v172                               // 00000000727C: 7F580BAC
	v_cvt_f32_i32_e32 v173, v173                               // 000000007280: 7F5A0BAD
	v_cvt_f32_i32_e32 v174, v174                               // 000000007284: 7F5C0BAE
	v_cvt_f32_i32_e32 v175, v175                               // 000000007288: 7F5E0BAF
	v_mul_f32_e32 v172, v23, v172                              // 00000000728C: 0B595917
	v_mul_f32_e32 v173, v23, v173                              // 000000007290: 0B5B5B17
	v_mul_f32_e32 v174, v23, v174                              // 000000007294: 0B5D5D17
	v_mul_f32_e32 v175, v23, v175                              // 000000007298: 0B5F5F17
	v_mul_f32_dpp v172, v11, v172 row_newbcast:8 row_mask:0xf bank_mask:0xf// 00000000729C: 0B5958FA FF01580B
	v_mul_f32_dpp v173, v11, v173 row_newbcast:9 row_mask:0xf bank_mask:0xf// 0000000072A4: 0B5B5AFA FF01590B
	v_mul_f32_dpp v174, v11, v174 row_newbcast:10 row_mask:0xf bank_mask:0xf// 0000000072AC: 0B5D5CFA FF015A0B
	v_mul_f32_dpp v175, v11, v175 row_newbcast:11 row_mask:0xf bank_mask:0xf// 0000000072B4: 0B5F5EFA FF015B0B
	v_mul_f32_e32 v172, v18, v172                              // 0000000072BC: 0B595912
	v_mul_f32_e32 v173, v18, v173                              // 0000000072C0: 0B5B5B12
	v_mul_f32_e32 v174, v18, v174                              // 0000000072C4: 0B5D5D12
	v_mul_f32_e32 v175, v18, v175                              // 0000000072C8: 0B5F5F12
	v_cvt_f32_i32_e32 v176, v176                               // 0000000072CC: 7F600BB0
	v_cvt_f32_i32_e32 v177, v177                               // 0000000072D0: 7F620BB1
	v_cvt_f32_i32_e32 v178, v178                               // 0000000072D4: 7F640BB2
	v_cvt_f32_i32_e32 v179, v179                               // 0000000072D8: 7F660BB3
	v_mul_f32_e32 v176, v22, v176                              // 0000000072DC: 0B616116
	v_mul_f32_e32 v177, v22, v177                              // 0000000072E0: 0B636316
	v_mul_f32_e32 v178, v22, v178                              // 0000000072E4: 0B656516
	v_mul_f32_e32 v179, v22, v179                              // 0000000072E8: 0B676716
	v_mul_f32_dpp v176, v11, v176 row_newbcast:12 row_mask:0xf bank_mask:0xf// 0000000072EC: 0B6160FA FF015C0B
	v_mul_f32_dpp v177, v11, v177 row_newbcast:13 row_mask:0xf bank_mask:0xf// 0000000072F4: 0B6362FA FF015D0B
	v_mul_f32_dpp v178, v11, v178 row_newbcast:14 row_mask:0xf bank_mask:0xf// 0000000072FC: 0B6564FA FF015E0B
	v_mul_f32_dpp v179, v11, v179 row_newbcast:15 row_mask:0xf bank_mask:0xf// 000000007304: 0B6766FA FF015F0B
	v_mul_f32_e32 v176, v17, v176                              // 00000000730C: 0B616111
	v_mul_f32_e32 v177, v17, v177                              // 000000007310: 0B636311
	v_mul_f32_e32 v178, v17, v178                              // 000000007314: 0B656511
	v_mul_f32_e32 v179, v17, v179                              // 000000007318: 0B676711
	v_cvt_f32_i32_e32 v180, v180                               // 00000000731C: 7F680BB4
	v_cvt_f32_i32_e32 v181, v181                               // 000000007320: 7F6A0BB5
	v_cvt_f32_i32_e32 v182, v182                               // 000000007324: 7F6C0BB6
	v_cvt_f32_i32_e32 v183, v183                               // 000000007328: 7F6E0BB7
	v_mul_f32_e32 v180, v23, v180                              // 00000000732C: 0B696917
	v_mul_f32_e32 v181, v23, v181                              // 000000007330: 0B6B6B17
	v_mul_f32_e32 v182, v23, v182                              // 000000007334: 0B6D6D17
	v_mul_f32_e32 v183, v23, v183                              // 000000007338: 0B6F6F17
	v_mul_f32_dpp v180, v11, v180 row_newbcast:12 row_mask:0xf bank_mask:0xf// 00000000733C: 0B6968FA FF015C0B
	v_mul_f32_dpp v181, v11, v181 row_newbcast:13 row_mask:0xf bank_mask:0xf// 000000007344: 0B6B6AFA FF015D0B
	v_mul_f32_dpp v182, v11, v182 row_newbcast:14 row_mask:0xf bank_mask:0xf// 00000000734C: 0B6D6CFA FF015E0B
	v_mul_f32_dpp v183, v11, v183 row_newbcast:15 row_mask:0xf bank_mask:0xf// 000000007354: 0B6F6EFA FF015F0B
	v_mul_f32_e32 v180, v18, v180                              // 00000000735C: 0B696912
	v_mul_f32_e32 v181, v18, v181                              // 000000007360: 0B6B6B12
	v_mul_f32_e32 v182, v18, v182                              // 000000007364: 0B6D6D12
	v_mul_f32_e32 v183, v18, v183                              // 000000007368: 0B6F6F12
	v_cmp_u_f32_e64 s[48:49], v152, v152                       // 00000000736C: D0480030 00033198
	v_add3_u32 v39, v152, v42, 1                               // 000000007374: D1FF0027 02065598
	v_cndmask_b32_e64 v44, v39, v41, s[48:49]                  // 00000000737C: D100002C 00C25327
	v_cmp_u_f32_e64 s[48:49], v153, v153                       // 000000007384: D0480030 00033399
	v_add3_u32 v39, v153, v42, 1                               // 00000000738C: D1FF0027 02065599
	v_cndmask_b32_e64 v45, v39, v41, s[48:49]                  // 000000007394: D100002D 00C25327
	v_perm_b32 v152, v45, v44, s52                             // 00000000739C: D1ED0098 00D2592D
	v_cmp_u_f32_e64 s[48:49], v154, v154                       // 0000000073A4: D0480030 0003359A
	v_add3_u32 v39, v154, v42, 1                               // 0000000073AC: D1FF0027 0206559A
	v_cndmask_b32_e64 v44, v39, v41, s[48:49]                  // 0000000073B4: D100002C 00C25327
	v_cmp_u_f32_e64 s[48:49], v155, v155                       // 0000000073BC: D0480030 0003379B
	v_add3_u32 v39, v155, v42, 1                               // 0000000073C4: D1FF0027 0206559B
	v_cndmask_b32_e64 v45, v39, v41, s[48:49]                  // 0000000073CC: D100002D 00C25327
	v_perm_b32 v153, v45, v44, s52                             // 0000000073D4: D1ED0099 00D2592D
	v_cmp_u_f32_e64 s[48:49], v156, v156                       // 0000000073DC: D0480030 0003399C
	v_add3_u32 v39, v156, v42, 1                               // 0000000073E4: D1FF0027 0206559C
	v_cndmask_b32_e64 v44, v39, v41, s[48:49]                  // 0000000073EC: D100002C 00C25327
	v_cmp_u_f32_e64 s[48:49], v157, v157                       // 0000000073F4: D0480030 00033B9D
	v_add3_u32 v39, v157, v42, 1                               // 0000000073FC: D1FF0027 0206559D
	v_cndmask_b32_e64 v45, v39, v41, s[48:49]                  // 000000007404: D100002D 00C25327
	v_perm_b32 v154, v45, v44, s52                             // 00000000740C: D1ED009A 00D2592D
	v_cmp_u_f32_e64 s[48:49], v158, v158                       // 000000007414: D0480030 00033D9E
	v_add3_u32 v39, v158, v42, 1                               // 00000000741C: D1FF0027 0206559E
	v_cndmask_b32_e64 v44, v39, v41, s[48:49]                  // 000000007424: D100002C 00C25327
	v_cmp_u_f32_e64 s[48:49], v159, v159                       // 00000000742C: D0480030 00033F9F
	v_add3_u32 v39, v159, v42, 1                               // 000000007434: D1FF0027 0206559F
	v_cndmask_b32_e64 v45, v39, v41, s[48:49]                  // 00000000743C: D100002D 00C25327
	v_perm_b32 v155, v45, v44, s52                             // 000000007444: D1ED009B 00D2592D
	v_cmp_u_f32_e64 s[48:49], v160, v160                       // 00000000744C: D0480030 000341A0
	v_add3_u32 v39, v160, v42, 1                               // 000000007454: D1FF0027 020655A0
	v_cndmask_b32_e64 v44, v39, v41, s[48:49]                  // 00000000745C: D100002C 00C25327
	v_cmp_u_f32_e64 s[48:49], v161, v161                       // 000000007464: D0480030 000343A1
	v_add3_u32 v39, v161, v42, 1                               // 00000000746C: D1FF0027 020655A1
	v_cndmask_b32_e64 v45, v39, v41, s[48:49]                  // 000000007474: D100002D 00C25327
	v_perm_b32 v156, v45, v44, s52                             // 00000000747C: D1ED009C 00D2592D
	v_cmp_u_f32_e64 s[48:49], v162, v162                       // 000000007484: D0480030 000345A2
	v_add3_u32 v39, v162, v42, 1                               // 00000000748C: D1FF0027 020655A2
	v_cndmask_b32_e64 v44, v39, v41, s[48:49]                  // 000000007494: D100002C 00C25327
	v_cmp_u_f32_e64 s[48:49], v163, v163                       // 00000000749C: D0480030 000347A3
	v_add3_u32 v39, v163, v42, 1                               // 0000000074A4: D1FF0027 020655A3
	v_cndmask_b32_e64 v45, v39, v41, s[48:49]                  // 0000000074AC: D100002D 00C25327
	v_perm_b32 v157, v45, v44, s52                             // 0000000074B4: D1ED009D 00D2592D
	v_cmp_u_f32_e64 s[48:49], v164, v164                       // 0000000074BC: D0480030 000349A4
	v_add3_u32 v39, v164, v42, 1                               // 0000000074C4: D1FF0027 020655A4
	v_cndmask_b32_e64 v44, v39, v41, s[48:49]                  // 0000000074CC: D100002C 00C25327
	v_cmp_u_f32_e64 s[48:49], v165, v165                       // 0000000074D4: D0480030 00034BA5
	v_add3_u32 v39, v165, v42, 1                               // 0000000074DC: D1FF0027 020655A5
	v_cndmask_b32_e64 v45, v39, v41, s[48:49]                  // 0000000074E4: D100002D 00C25327
	v_perm_b32 v158, v45, v44, s52                             // 0000000074EC: D1ED009E 00D2592D
	v_cmp_u_f32_e64 s[48:49], v166, v166                       // 0000000074F4: D0480030 00034DA6
	v_add3_u32 v39, v166, v42, 1                               // 0000000074FC: D1FF0027 020655A6
	v_cndmask_b32_e64 v44, v39, v41, s[48:49]                  // 000000007504: D100002C 00C25327
	v_cmp_u_f32_e64 s[48:49], v167, v167                       // 00000000750C: D0480030 00034FA7
	v_add3_u32 v39, v167, v42, 1                               // 000000007514: D1FF0027 020655A7
	v_cndmask_b32_e64 v45, v39, v41, s[48:49]                  // 00000000751C: D100002D 00C25327
	v_perm_b32 v159, v45, v44, s52                             // 000000007524: D1ED009F 00D2592D
	v_cmp_u_f32_e64 s[48:49], v168, v168                       // 00000000752C: D0480030 000351A8
	v_add3_u32 v39, v168, v42, 1                               // 000000007534: D1FF0027 020655A8
	v_cndmask_b32_e64 v44, v39, v41, s[48:49]                  // 00000000753C: D100002C 00C25327
	v_cmp_u_f32_e64 s[48:49], v169, v169                       // 000000007544: D0480030 000353A9
	v_add3_u32 v39, v169, v42, 1                               // 00000000754C: D1FF0027 020655A9
	v_cndmask_b32_e64 v45, v39, v41, s[48:49]                  // 000000007554: D100002D 00C25327
	v_perm_b32 v160, v45, v44, s52                             // 00000000755C: D1ED00A0 00D2592D
	v_cmp_u_f32_e64 s[48:49], v170, v170                       // 000000007564: D0480030 000355AA
	v_add3_u32 v39, v170, v42, 1                               // 00000000756C: D1FF0027 020655AA
	v_cndmask_b32_e64 v44, v39, v41, s[48:49]                  // 000000007574: D100002C 00C25327
	v_cmp_u_f32_e64 s[48:49], v171, v171                       // 00000000757C: D0480030 000357AB
	v_add3_u32 v39, v171, v42, 1                               // 000000007584: D1FF0027 020655AB
	v_cndmask_b32_e64 v45, v39, v41, s[48:49]                  // 00000000758C: D100002D 00C25327
	v_perm_b32 v161, v45, v44, s52                             // 000000007594: D1ED00A1 00D2592D
	v_cmp_u_f32_e64 s[48:49], v172, v172                       // 00000000759C: D0480030 000359AC
	v_add3_u32 v39, v172, v42, 1                               // 0000000075A4: D1FF0027 020655AC
	v_cndmask_b32_e64 v44, v39, v41, s[48:49]                  // 0000000075AC: D100002C 00C25327
	v_cmp_u_f32_e64 s[48:49], v173, v173                       // 0000000075B4: D0480030 00035BAD
	v_add3_u32 v39, v173, v42, 1                               // 0000000075BC: D1FF0027 020655AD
	v_cndmask_b32_e64 v45, v39, v41, s[48:49]                  // 0000000075C4: D100002D 00C25327
	v_perm_b32 v162, v45, v44, s52                             // 0000000075CC: D1ED00A2 00D2592D
	v_cmp_u_f32_e64 s[48:49], v174, v174                       // 0000000075D4: D0480030 00035DAE
	v_add3_u32 v39, v174, v42, 1                               // 0000000075DC: D1FF0027 020655AE
	v_cndmask_b32_e64 v44, v39, v41, s[48:49]                  // 0000000075E4: D100002C 00C25327
	v_cmp_u_f32_e64 s[48:49], v175, v175                       // 0000000075EC: D0480030 00035FAF
	v_add3_u32 v39, v175, v42, 1                               // 0000000075F4: D1FF0027 020655AF
	v_cndmask_b32_e64 v45, v39, v41, s[48:49]                  // 0000000075FC: D100002D 00C25327
	v_perm_b32 v163, v45, v44, s52                             // 000000007604: D1ED00A3 00D2592D
	v_cmp_u_f32_e64 s[48:49], v176, v176                       // 00000000760C: D0480030 000361B0
	v_add3_u32 v39, v176, v42, 1                               // 000000007614: D1FF0027 020655B0
	v_cndmask_b32_e64 v44, v39, v41, s[48:49]                  // 00000000761C: D100002C 00C25327
	v_cmp_u_f32_e64 s[48:49], v177, v177                       // 000000007624: D0480030 000363B1
	v_add3_u32 v39, v177, v42, 1                               // 00000000762C: D1FF0027 020655B1
	v_cndmask_b32_e64 v45, v39, v41, s[48:49]                  // 000000007634: D100002D 00C25327
	v_perm_b32 v164, v45, v44, s52                             // 00000000763C: D1ED00A4 00D2592D
	v_cmp_u_f32_e64 s[48:49], v178, v178                       // 000000007644: D0480030 000365B2
	v_add3_u32 v39, v178, v42, 1                               // 00000000764C: D1FF0027 020655B2
	v_cndmask_b32_e64 v44, v39, v41, s[48:49]                  // 000000007654: D100002C 00C25327
	v_cmp_u_f32_e64 s[48:49], v179, v179                       // 00000000765C: D0480030 000367B3
	v_add3_u32 v39, v179, v42, 1                               // 000000007664: D1FF0027 020655B3
	v_cndmask_b32_e64 v45, v39, v41, s[48:49]                  // 00000000766C: D100002D 00C25327
	v_perm_b32 v165, v45, v44, s52                             // 000000007674: D1ED00A5 00D2592D
	v_cmp_u_f32_e64 s[48:49], v180, v180                       // 00000000767C: D0480030 000369B4
	v_add3_u32 v39, v180, v42, 1                               // 000000007684: D1FF0027 020655B4
	v_cndmask_b32_e64 v44, v39, v41, s[48:49]                  // 00000000768C: D100002C 00C25327
	v_cmp_u_f32_e64 s[48:49], v181, v181                       // 000000007694: D0480030 00036BB5
	v_add3_u32 v39, v181, v42, 1                               // 00000000769C: D1FF0027 020655B5
	v_cndmask_b32_e64 v45, v39, v41, s[48:49]                  // 0000000076A4: D100002D 00C25327
	v_perm_b32 v166, v45, v44, s52                             // 0000000076AC: D1ED00A6 00D2592D
	v_cmp_u_f32_e64 s[48:49], v182, v182                       // 0000000076B4: D0480030 00036DB6
	v_add3_u32 v39, v182, v42, 1                               // 0000000076BC: D1FF0027 020655B6
	v_cndmask_b32_e64 v44, v39, v41, s[48:49]                  // 0000000076C4: D100002C 00C25327
	v_cmp_u_f32_e64 s[48:49], v183, v183                       // 0000000076CC: D0480030 00036FB7
	v_add3_u32 v39, v183, v42, 1                               // 0000000076D4: D1FF0027 020655B7
	v_cndmask_b32_e64 v45, v39, v41, s[48:49]                  // 0000000076DC: D100002D 00C25327
	v_perm_b32 v167, v45, v44, s52                             // 0000000076E4: D1ED00A7 00D2592D
	ds_write_b64 v3, v[152:153] offset:24832                   // 0000000076EC: D89A6100 00009803
	ds_write_b64 v3, v[154:155] offset:33536                   // 0000000076F4: D89A8300 00009A03
	ds_write_b64 v3, v[156:157] offset:27008                   // 0000000076FC: D89A6980 00009C03
	ds_write_b64 v3, v[158:159] offset:35712                   // 000000007704: D89A8B80 00009E03
	ds_write_b64 v3, v[160:161] offset:29184                   // 00000000770C: D89A7200 0000A003
	ds_write_b64 v3, v[162:163] offset:37888                   // 000000007714: D89A9400 0000A203
	ds_write_b64 v3, v[164:165] offset:31360                   // 00000000771C: D89A7A80 0000A403
	ds_write_b64 v3, v[166:167] offset:40064                   // 000000007724: D89A9C80 0000A603
	s_waitcnt lgkmcnt(0)                                       // 00000000772C: BF8CC07F
	s_barrier                                                  // 000000007730: BF8A0000
	ds_read_b32 v64, v4 offset:24832                           // 000000007734: D86C6100 40000004
	ds_read_b32 v65, v4 offset:29184                           // 00000000773C: D86C7200 41000004
	ds_read_b32 v66, v4 offset:24864                           // 000000007744: D86C6120 42000004
	ds_read_b32 v67, v4 offset:29216                           // 00000000774C: D86C7220 43000004
	ds_read_b32 v68, v4 offset:24896                           // 000000007754: D86C6140 44000004
	ds_read_b32 v69, v4 offset:29248                           // 00000000775C: D86C7240 45000004
	ds_read_b32 v70, v4 offset:24928                           // 000000007764: D86C6160 46000004
	ds_read_b32 v71, v4 offset:29280                           // 00000000776C: D86C7260 47000004
	ds_read_b32 v72, v4 offset:33536                           // 000000007774: D86C8300 48000004
	ds_read_b32 v73, v4 offset:37888                           // 00000000777C: D86C9400 49000004
	ds_read_b32 v74, v4 offset:33568                           // 000000007784: D86C8320 4A000004
	ds_read_b32 v75, v4 offset:37920                           // 00000000778C: D86C9420 4B000004
	ds_read_b32 v76, v4 offset:33600                           // 000000007794: D86C8340 4C000004
	ds_read_b32 v77, v4 offset:37952                           // 00000000779C: D86C9440 4D000004
	ds_read_b32 v78, v4 offset:33632                           // 0000000077A4: D86C8360 4E000004
	ds_read_b32 v79, v4 offset:37984                           // 0000000077AC: D86C9460 4F000004
	s_waitcnt lgkmcnt(0)                                       // 0000000077B4: BF8CC07F
	s_mov_b64 exec, s[20:21]                                   // 0000000077B8: BEFE0114
	global_atomic_pk_add_bf16 v80, v64, s[8:9]                 // 0000000077BC: DD488000 00084050
	s_mov_b64 exec, s[36:37]                                   // 0000000077C4: BEFE0124
	s_mov_b64 exec, s[20:21]                                   // 0000000077C8: BEFE0114
	global_atomic_pk_add_bf16 v80, v65, s[8:9] offset:256      // 0000000077CC: DD488100 00084150
	s_mov_b64 exec, s[36:37]                                   // 0000000077D4: BEFE0124
	s_mov_b64 exec, s[22:23]                                   // 0000000077D8: BEFE0116
	global_atomic_pk_add_bf16 v82, v66, s[8:9]                 // 0000000077DC: DD488000 00084252
	s_mov_b64 exec, s[36:37]                                   // 0000000077E4: BEFE0124
	s_mov_b64 exec, s[22:23]                                   // 0000000077E8: BEFE0116
	global_atomic_pk_add_bf16 v82, v67, s[8:9] offset:256      // 0000000077EC: DD488100 00084352
	s_mov_b64 exec, s[36:37]                                   // 0000000077F4: BEFE0124
	s_mov_b64 exec, s[24:25]                                   // 0000000077F8: BEFE0118
	global_atomic_pk_add_bf16 v84, v68, s[8:9]                 // 0000000077FC: DD488000 00084454
	s_mov_b64 exec, s[36:37]                                   // 000000007804: BEFE0124
	s_mov_b64 exec, s[24:25]                                   // 000000007808: BEFE0118
	global_atomic_pk_add_bf16 v84, v69, s[8:9] offset:256      // 00000000780C: DD488100 00084554
	s_mov_b64 exec, s[36:37]                                   // 000000007814: BEFE0124
	s_mov_b64 exec, s[26:27]                                   // 000000007818: BEFE011A
	global_atomic_pk_add_bf16 v86, v70, s[8:9]                 // 00000000781C: DD488000 00084656
	s_mov_b64 exec, s[36:37]                                   // 000000007824: BEFE0124
	s_mov_b64 exec, s[26:27]                                   // 000000007828: BEFE011A
	global_atomic_pk_add_bf16 v86, v71, s[8:9] offset:256      // 00000000782C: DD488100 00084756
	s_mov_b64 exec, s[36:37]                                   // 000000007834: BEFE0124
	s_mov_b64 exec, s[28:29]                                   // 000000007838: BEFE011C
	global_atomic_pk_add_bf16 v88, v72, s[8:9]                 // 00000000783C: DD488000 00084858
	s_mov_b64 exec, s[36:37]                                   // 000000007844: BEFE0124
	s_mov_b64 exec, s[28:29]                                   // 000000007848: BEFE011C
	global_atomic_pk_add_bf16 v88, v73, s[8:9] offset:256      // 00000000784C: DD488100 00084958
	s_mov_b64 exec, s[36:37]                                   // 000000007854: BEFE0124
	s_mov_b64 exec, s[30:31]                                   // 000000007858: BEFE011E
	global_atomic_pk_add_bf16 v90, v74, s[8:9]                 // 00000000785C: DD488000 00084A5A
	s_mov_b64 exec, s[36:37]                                   // 000000007864: BEFE0124
	s_mov_b64 exec, s[30:31]                                   // 000000007868: BEFE011E
	global_atomic_pk_add_bf16 v90, v75, s[8:9] offset:256      // 00000000786C: DD488100 00084B5A
	s_mov_b64 exec, s[36:37]                                   // 000000007874: BEFE0124
	s_mov_b64 exec, s[32:33]                                   // 000000007878: BEFE0120
	global_atomic_pk_add_bf16 v92, v76, s[8:9]                 // 00000000787C: DD488000 00084C5C
	s_mov_b64 exec, s[36:37]                                   // 000000007884: BEFE0124
	s_mov_b64 exec, s[32:33]                                   // 000000007888: BEFE0120
	global_atomic_pk_add_bf16 v92, v77, s[8:9] offset:256      // 00000000788C: DD488100 00084D5C
	s_mov_b64 exec, s[36:37]                                   // 000000007894: BEFE0124
	s_mov_b64 exec, s[34:35]                                   // 000000007898: BEFE0122
	global_atomic_pk_add_bf16 v94, v78, s[8:9]                 // 00000000789C: DD488000 00084E5E
	s_mov_b64 exec, s[36:37]                                   // 0000000078A4: BEFE0124
	s_mov_b64 exec, s[34:35]                                   // 0000000078A8: BEFE0122
	global_atomic_pk_add_bf16 v94, v79, s[8:9] offset:256      // 0000000078AC: DD488100 00084F5E
	s_mov_b64 exec, s[36:37]                                   // 0000000078B4: BEFE0124
	s_add_u32 s8, s59, s8                                      // 0000000078B8: 8008083B
	s_addc_u32 s9, 0, s9                                       // 0000000078BC: 82090980
	s_addk_i32 s80, 0x100                                      // 0000000078C0: B7500100
	s_cmp_lt_i32 s80, s81                                      // 0000000078C4: BF045150
	s_cbranch_scc0 label_0BEB                                  // 0000000078C8: BF84F938
	s_waitcnt vmcnt(25)                                        // 0000000078CC: BF8C4F79
	s_barrier                                                  // 0000000078D0: BF8A0000
	v_mfma_i32_16x16x32_i8 v[184:187], a[48:49], v[128:129], 0 // 0000000078D4: D3D700B8 0A030130
	buffer_load_dwordx4 a[0:3], v35, s[12:15], 0 offen         // 0000000078DC: E05C1000 80830023
	v_mfma_i32_16x16x32_i8 v[184:187], a[50:51], v[130:131], v[184:187]// 0000000078E4: D3D700B8 0EE30532
	v_mfma_i32_16x16x32_i8 v[188:191], a[48:49], v[140:141], 0 // 0000000078EC: D3D700BC 0A031930
	v_mfma_i32_16x16x32_i8 v[188:191], a[50:51], v[142:143], v[188:191]// 0000000078F4: D3D700BC 0EF31D32
	v_mfma_i32_16x16x32_i8 v[192:195], a[52:53], v[128:129], 0 // 0000000078FC: D3D700C0 0A030134
	buffer_load_dwordx4 a[4:7], v36, s[12:15], 0 offen         // 000000007904: E05C1000 80830424
	v_mfma_i32_16x16x32_i8 v[192:195], a[54:55], v[130:131], v[192:195]// 00000000790C: D3D700C0 0F030536
	v_mfma_i32_16x16x32_i8 v[196:199], a[52:53], v[140:141], 0 // 000000007914: D3D700C4 0A031934
	v_mfma_i32_16x16x32_i8 v[196:199], a[54:55], v[142:143], v[196:199]// 00000000791C: D3D700C4 0F131D36
	v_mfma_i32_16x16x32_i8 v[200:203], a[56:57], v[128:129], 0 // 000000007924: D3D700C8 0A030138
	buffer_load_dwordx4 a[8:11], v37, s[12:15], 0 offen        // 00000000792C: E05C1000 80830825
	v_mfma_i32_16x16x32_i8 v[200:203], a[58:59], v[130:131], v[200:203]// 000000007934: D3D700C8 0F23053A
	v_mfma_i32_16x16x32_i8 v[204:207], a[56:57], v[140:141], 0 // 00000000793C: D3D700CC 0A031938
	v_mfma_i32_16x16x32_i8 v[204:207], a[58:59], v[142:143], v[204:207]// 000000007944: D3D700CC 0F331D3A
	v_mfma_i32_16x16x32_i8 v[208:211], a[60:61], v[128:129], 0 // 00000000794C: D3D700D0 0A03013C
	buffer_load_dwordx4 a[12:15], v38, s[12:15], 0 offen       // 000000007954: E05C1000 80830C26
	s_add_u32 s12, s78, s12                                    // 00000000795C: 800C0C4E
	s_addc_u32 s13, 0, s13                                     // 000000007960: 820D0D80
	v_mfma_i32_16x16x32_i8 v[208:211], a[62:63], v[130:131], v[208:211]// 000000007964: D3D700D0 0F43053E
	v_mfma_i32_16x16x32_i8 v[212:215], a[60:61], v[140:141], 0 // 00000000796C: D3D700D4 0A03193C
	v_mfma_i32_16x16x32_i8 v[212:215], a[62:63], v[142:143], v[212:215]// 000000007974: D3D700D4 0F531D3E
	s_waitcnt vmcnt(25)                                        // 00000000797C: BF8C4F79
	v_mfma_i32_16x16x32_i8 v[184:187], a[64:65], v[132:133], v[184:187]// 000000007980: D3D700B8 0EE30940
	buffer_load_dwordx4 a[16:19], v35, s[12:15], 0 offen       // 000000007988: E05C1000 80831023
	v_mfma_i32_16x16x32_i8 v[184:187], a[66:67], v[134:135], v[184:187]// 000000007990: D3D700B8 0EE30D42
	v_mfma_i32_16x16x32_i8 v[188:191], a[64:65], v[144:145], v[188:191]// 000000007998: D3D700BC 0EF32140
	v_mfma_i32_16x16x32_i8 v[188:191], a[66:67], v[146:147], v[188:191]// 0000000079A0: D3D700BC 0EF32542
	v_mfma_i32_16x16x32_i8 v[192:195], a[68:69], v[132:133], v[192:195]// 0000000079A8: D3D700C0 0F030944
	buffer_load_dwordx4 a[20:23], v36, s[12:15], 0 offen       // 0000000079B0: E05C1000 80831424
	v_mfma_i32_16x16x32_i8 v[192:195], a[70:71], v[134:135], v[192:195]// 0000000079B8: D3D700C0 0F030D46
	v_mfma_i32_16x16x32_i8 v[196:199], a[68:69], v[144:145], v[196:199]// 0000000079C0: D3D700C4 0F132144
	v_mfma_i32_16x16x32_i8 v[196:199], a[70:71], v[146:147], v[196:199]// 0000000079C8: D3D700C4 0F132546
	v_mfma_i32_16x16x32_i8 v[200:203], a[72:73], v[132:133], v[200:203]// 0000000079D0: D3D700C8 0F230948
	buffer_load_dwordx4 a[24:27], v37, s[12:15], 0 offen       // 0000000079D8: E05C1000 80831825
	v_mfma_i32_16x16x32_i8 v[200:203], a[74:75], v[134:135], v[200:203]// 0000000079E0: D3D700C8 0F230D4A
	v_mfma_i32_16x16x32_i8 v[204:207], a[72:73], v[144:145], v[204:207]// 0000000079E8: D3D700CC 0F332148
	v_mfma_i32_16x16x32_i8 v[204:207], a[74:75], v[146:147], v[204:207]// 0000000079F0: D3D700CC 0F33254A
	v_mfma_i32_16x16x32_i8 v[208:211], a[76:77], v[132:133], v[208:211]// 0000000079F8: D3D700D0 0F43094C
	buffer_load_dwordx4 a[28:31], v38, s[12:15], 0 offen       // 000000007A00: E05C1000 80831C26
	s_add_u32 s12, s78, s12                                    // 000000007A08: 800C0C4E
	s_addc_u32 s13, 0, s13                                     // 000000007A0C: 820D0D80
	v_mfma_i32_16x16x32_i8 v[208:211], a[78:79], v[134:135], v[208:211]// 000000007A10: D3D700D0 0F430D4E
	v_mfma_i32_16x16x32_i8 v[212:215], a[76:77], v[144:145], v[212:215]// 000000007A18: D3D700D4 0F53214C
	v_mfma_i32_16x16x32_i8 v[212:215], a[78:79], v[146:147], v[212:215]// 000000007A20: D3D700D4 0F53254E
	s_waitcnt vmcnt(24)                                        // 000000007A28: BF8C4F78
	v_mfma_i32_16x16x32_i8 v[184:187], a[80:81], v[136:137], v[184:187]// 000000007A2C: D3D700B8 0EE31150
	buffer_load_dwordx4 a[32:35], v35, s[12:15], 0 offen       // 000000007A34: E05C1000 80832023
	v_mfma_i32_16x16x32_i8 v[184:187], a[82:83], v[138:139], v[184:187]// 000000007A3C: D3D700B8 0EE31552
	v_mfma_i32_16x16x32_i8 v[188:191], a[80:81], v[148:149], v[188:191]// 000000007A44: D3D700BC 0EF32950
	buffer_load_dword v11, v5, s[16:19], 0 offen               // 000000007A4C: E0501000 80040B05
	v_mfma_i32_16x16x32_i8 v[188:191], a[82:83], v[150:151], v[188:191]// 000000007A54: D3D700BC 0EF32D52
	v_mfma_i32_16x16x32_i8 v[192:195], a[84:85], v[136:137], v[192:195]// 000000007A5C: D3D700C0 0F031154
	buffer_load_dwordx4 a[36:39], v36, s[12:15], 0 offen       // 000000007A64: E05C1000 80832424
	v_mfma_i32_16x16x32_i8 v[192:195], a[86:87], v[138:139], v[192:195]// 000000007A6C: D3D700C0 0F031556
	v_mfma_i32_16x16x32_i8 v[196:199], a[84:85], v[148:149], v[196:199]// 000000007A74: D3D700C4 0F132954
	v_mfma_i32_16x16x32_i8 v[196:199], a[86:87], v[150:151], v[196:199]// 000000007A7C: D3D700C4 0F132D56
	v_mfma_i32_16x16x32_i8 v[200:203], a[88:89], v[136:137], v[200:203]// 000000007A84: D3D700C8 0F231158
	buffer_load_dwordx4 a[40:43], v37, s[12:15], 0 offen       // 000000007A8C: E05C1000 80832825
	v_mfma_i32_16x16x32_i8 v[200:203], a[90:91], v[138:139], v[200:203]// 000000007A94: D3D700C8 0F23155A
	v_mfma_i32_16x16x32_i8 v[204:207], a[88:89], v[148:149], v[204:207]// 000000007A9C: D3D700CC 0F332958
	v_mfma_i32_16x16x32_i8 v[204:207], a[90:91], v[150:151], v[204:207]// 000000007AA4: D3D700CC 0F332D5A
	v_mfma_i32_16x16x32_i8 v[208:211], a[92:93], v[136:137], v[208:211]// 000000007AAC: D3D700D0 0F43115C
	buffer_load_dwordx4 a[44:47], v38, s[12:15], 0 offen       // 000000007AB4: E05C1000 80832C26
	v_mfma_i32_16x16x32_i8 v[208:211], a[94:95], v[138:139], v[208:211]// 000000007ABC: D3D700D0 0F43155E
	v_mfma_i32_16x16x32_i8 v[212:215], a[92:93], v[148:149], v[212:215]// 000000007AC4: D3D700D4 0F53295C
	v_mfma_i32_16x16x32_i8 v[212:215], a[94:95], v[150:151], v[212:215]// 000000007ACC: D3D700D4 0F532D5E
	s_add_u32 s60, 0x200, s80                                  // 000000007AD4: 803C50FF 00000200
	s_cmp_lt_u32 s60, s81                                      // 000000007ADC: BF0A513C
	s_cselect_b32 s56, s56, 0                                  // 000000007AE0: 85388038
	s_cselect_b32 s78, s78, 0                                  // 000000007AE4: 854E804E
	s_cselect_b32 s79, s79, 0                                  // 000000007AE8: 854F804F
	s_add_u32 s12, s56, s12                                    // 000000007AEC: 800C0C38
	s_addc_u32 s13, 0, s13                                     // 000000007AF0: 820D0D80
	s_add_u32 s16, s79, s16                                    // 000000007AF4: 8010104F
	s_addc_u32 s17, 0, s17                                     // 000000007AF8: 82111180
	v_cvt_f32_i32_e32 v184, v184                               // 000000007AFC: 7F700BB8
	v_cvt_f32_i32_e32 v185, v185                               // 000000007B00: 7F720BB9
	v_cvt_f32_i32_e32 v186, v186                               // 000000007B04: 7F740BBA
	v_cvt_f32_i32_e32 v187, v187                               // 000000007B08: 7F760BBB
	v_mul_f32_e32 v184, v22, v184                              // 000000007B0C: 0B717116
	v_mul_f32_e32 v185, v22, v185                              // 000000007B10: 0B737316
	v_mul_f32_e32 v186, v22, v186                              // 000000007B14: 0B757516
	v_mul_f32_e32 v187, v22, v187                              // 000000007B18: 0B777716
	v_mul_f32_dpp v184, v12, v184 row_newbcast:0 row_mask:0xf bank_mask:0xf// 000000007B1C: 0B7170FA FF01500C
	v_mul_f32_dpp v185, v12, v185 row_newbcast:1 row_mask:0xf bank_mask:0xf// 000000007B24: 0B7372FA FF01510C
	v_mul_f32_dpp v186, v12, v186 row_newbcast:2 row_mask:0xf bank_mask:0xf// 000000007B2C: 0B7574FA FF01520C
	v_mul_f32_dpp v187, v12, v187 row_newbcast:3 row_mask:0xf bank_mask:0xf// 000000007B34: 0B7776FA FF01530C
	v_mul_f32_e32 v184, v17, v184                              // 000000007B3C: 0B717111
	v_mul_f32_e32 v185, v17, v185                              // 000000007B40: 0B737311
	v_mul_f32_e32 v186, v17, v186                              // 000000007B44: 0B757511
	v_mul_f32_e32 v187, v17, v187                              // 000000007B48: 0B777711
	v_cvt_f32_i32_e32 v188, v188                               // 000000007B4C: 7F780BBC
	v_cvt_f32_i32_e32 v189, v189                               // 000000007B50: 7F7A0BBD
	v_cvt_f32_i32_e32 v190, v190                               // 000000007B54: 7F7C0BBE
	v_cvt_f32_i32_e32 v191, v191                               // 000000007B58: 7F7E0BBF
	v_mul_f32_e32 v188, v23, v188                              // 000000007B5C: 0B797917
	v_mul_f32_e32 v189, v23, v189                              // 000000007B60: 0B7B7B17
	v_mul_f32_e32 v190, v23, v190                              // 000000007B64: 0B7D7D17
	v_mul_f32_e32 v191, v23, v191                              // 000000007B68: 0B7F7F17
	v_mul_f32_dpp v188, v12, v188 row_newbcast:0 row_mask:0xf bank_mask:0xf// 000000007B6C: 0B7978FA FF01500C
	v_mul_f32_dpp v189, v12, v189 row_newbcast:1 row_mask:0xf bank_mask:0xf// 000000007B74: 0B7B7AFA FF01510C
	v_mul_f32_dpp v190, v12, v190 row_newbcast:2 row_mask:0xf bank_mask:0xf// 000000007B7C: 0B7D7CFA FF01520C
	v_mul_f32_dpp v191, v12, v191 row_newbcast:3 row_mask:0xf bank_mask:0xf// 000000007B84: 0B7F7EFA FF01530C
	v_mul_f32_e32 v188, v18, v188                              // 000000007B8C: 0B797912
	v_mul_f32_e32 v189, v18, v189                              // 000000007B90: 0B7B7B12
	v_mul_f32_e32 v190, v18, v190                              // 000000007B94: 0B7D7D12
	v_mul_f32_e32 v191, v18, v191                              // 000000007B98: 0B7F7F12
	v_cvt_f32_i32_e32 v192, v192                               // 000000007B9C: 7F800BC0
	v_cvt_f32_i32_e32 v193, v193                               // 000000007BA0: 7F820BC1
	v_cvt_f32_i32_e32 v194, v194                               // 000000007BA4: 7F840BC2
	v_cvt_f32_i32_e32 v195, v195                               // 000000007BA8: 7F860BC3
	v_mul_f32_e32 v192, v22, v192                              // 000000007BAC: 0B818116
	v_mul_f32_e32 v193, v22, v193                              // 000000007BB0: 0B838316
	v_mul_f32_e32 v194, v22, v194                              // 000000007BB4: 0B858516
	v_mul_f32_e32 v195, v22, v195                              // 000000007BB8: 0B878716
	v_mul_f32_dpp v192, v12, v192 row_newbcast:4 row_mask:0xf bank_mask:0xf// 000000007BBC: 0B8180FA FF01540C
	v_mul_f32_dpp v193, v12, v193 row_newbcast:5 row_mask:0xf bank_mask:0xf// 000000007BC4: 0B8382FA FF01550C
	v_mul_f32_dpp v194, v12, v194 row_newbcast:6 row_mask:0xf bank_mask:0xf// 000000007BCC: 0B8584FA FF01560C
	v_mul_f32_dpp v195, v12, v195 row_newbcast:7 row_mask:0xf bank_mask:0xf// 000000007BD4: 0B8786FA FF01570C
	v_mul_f32_e32 v192, v17, v192                              // 000000007BDC: 0B818111
	v_mul_f32_e32 v193, v17, v193                              // 000000007BE0: 0B838311
	v_mul_f32_e32 v194, v17, v194                              // 000000007BE4: 0B858511
	v_mul_f32_e32 v195, v17, v195                              // 000000007BE8: 0B878711
	v_cvt_f32_i32_e32 v196, v196                               // 000000007BEC: 7F880BC4
	v_cvt_f32_i32_e32 v197, v197                               // 000000007BF0: 7F8A0BC5
	v_cvt_f32_i32_e32 v198, v198                               // 000000007BF4: 7F8C0BC6
	v_cvt_f32_i32_e32 v199, v199                               // 000000007BF8: 7F8E0BC7
	v_mul_f32_e32 v196, v23, v196                              // 000000007BFC: 0B898917
	v_mul_f32_e32 v197, v23, v197                              // 000000007C00: 0B8B8B17
	v_mul_f32_e32 v198, v23, v198                              // 000000007C04: 0B8D8D17
	v_mul_f32_e32 v199, v23, v199                              // 000000007C08: 0B8F8F17
	v_mul_f32_dpp v196, v12, v196 row_newbcast:4 row_mask:0xf bank_mask:0xf// 000000007C0C: 0B8988FA FF01540C
	v_mul_f32_dpp v197, v12, v197 row_newbcast:5 row_mask:0xf bank_mask:0xf// 000000007C14: 0B8B8AFA FF01550C
	v_mul_f32_dpp v198, v12, v198 row_newbcast:6 row_mask:0xf bank_mask:0xf// 000000007C1C: 0B8D8CFA FF01560C
	v_mul_f32_dpp v199, v12, v199 row_newbcast:7 row_mask:0xf bank_mask:0xf// 000000007C24: 0B8F8EFA FF01570C
	v_mul_f32_e32 v196, v18, v196                              // 000000007C2C: 0B898912
	v_mul_f32_e32 v197, v18, v197                              // 000000007C30: 0B8B8B12
	v_mul_f32_e32 v198, v18, v198                              // 000000007C34: 0B8D8D12
	v_mul_f32_e32 v199, v18, v199                              // 000000007C38: 0B8F8F12
	v_cvt_f32_i32_e32 v200, v200                               // 000000007C3C: 7F900BC8
	v_cvt_f32_i32_e32 v201, v201                               // 000000007C40: 7F920BC9
	v_cvt_f32_i32_e32 v202, v202                               // 000000007C44: 7F940BCA
	v_cvt_f32_i32_e32 v203, v203                               // 000000007C48: 7F960BCB
	v_mul_f32_e32 v200, v22, v200                              // 000000007C4C: 0B919116
	v_mul_f32_e32 v201, v22, v201                              // 000000007C50: 0B939316
	v_mul_f32_e32 v202, v22, v202                              // 000000007C54: 0B959516
	v_mul_f32_e32 v203, v22, v203                              // 000000007C58: 0B979716
	v_mul_f32_dpp v200, v12, v200 row_newbcast:8 row_mask:0xf bank_mask:0xf// 000000007C5C: 0B9190FA FF01580C
	v_mul_f32_dpp v201, v12, v201 row_newbcast:9 row_mask:0xf bank_mask:0xf// 000000007C64: 0B9392FA FF01590C
	v_mul_f32_dpp v202, v12, v202 row_newbcast:10 row_mask:0xf bank_mask:0xf// 000000007C6C: 0B9594FA FF015A0C
	v_mul_f32_dpp v203, v12, v203 row_newbcast:11 row_mask:0xf bank_mask:0xf// 000000007C74: 0B9796FA FF015B0C
	v_mul_f32_e32 v200, v17, v200                              // 000000007C7C: 0B919111
	v_mul_f32_e32 v201, v17, v201                              // 000000007C80: 0B939311
	v_mul_f32_e32 v202, v17, v202                              // 000000007C84: 0B959511
	v_mul_f32_e32 v203, v17, v203                              // 000000007C88: 0B979711
	v_cvt_f32_i32_e32 v204, v204                               // 000000007C8C: 7F980BCC
	v_cvt_f32_i32_e32 v205, v205                               // 000000007C90: 7F9A0BCD
	v_cvt_f32_i32_e32 v206, v206                               // 000000007C94: 7F9C0BCE
	v_cvt_f32_i32_e32 v207, v207                               // 000000007C98: 7F9E0BCF
	v_mul_f32_e32 v204, v23, v204                              // 000000007C9C: 0B999917
	v_mul_f32_e32 v205, v23, v205                              // 000000007CA0: 0B9B9B17
	v_mul_f32_e32 v206, v23, v206                              // 000000007CA4: 0B9D9D17
	v_mul_f32_e32 v207, v23, v207                              // 000000007CA8: 0B9F9F17
	v_mul_f32_dpp v204, v12, v204 row_newbcast:8 row_mask:0xf bank_mask:0xf// 000000007CAC: 0B9998FA FF01580C
	v_mul_f32_dpp v205, v12, v205 row_newbcast:9 row_mask:0xf bank_mask:0xf// 000000007CB4: 0B9B9AFA FF01590C
	v_mul_f32_dpp v206, v12, v206 row_newbcast:10 row_mask:0xf bank_mask:0xf// 000000007CBC: 0B9D9CFA FF015A0C
	v_mul_f32_dpp v207, v12, v207 row_newbcast:11 row_mask:0xf bank_mask:0xf// 000000007CC4: 0B9F9EFA FF015B0C
	v_mul_f32_e32 v204, v18, v204                              // 000000007CCC: 0B999912
	v_mul_f32_e32 v205, v18, v205                              // 000000007CD0: 0B9B9B12
	v_mul_f32_e32 v206, v18, v206                              // 000000007CD4: 0B9D9D12
	v_mul_f32_e32 v207, v18, v207                              // 000000007CD8: 0B9F9F12
	v_cvt_f32_i32_e32 v208, v208                               // 000000007CDC: 7FA00BD0
	v_cvt_f32_i32_e32 v209, v209                               // 000000007CE0: 7FA20BD1
	v_cvt_f32_i32_e32 v210, v210                               // 000000007CE4: 7FA40BD2
	v_cvt_f32_i32_e32 v211, v211                               // 000000007CE8: 7FA60BD3
	v_mul_f32_e32 v208, v22, v208                              // 000000007CEC: 0BA1A116
	v_mul_f32_e32 v209, v22, v209                              // 000000007CF0: 0BA3A316
	v_mul_f32_e32 v210, v22, v210                              // 000000007CF4: 0BA5A516
	v_mul_f32_e32 v211, v22, v211                              // 000000007CF8: 0BA7A716
	v_mul_f32_dpp v208, v12, v208 row_newbcast:12 row_mask:0xf bank_mask:0xf// 000000007CFC: 0BA1A0FA FF015C0C
	v_mul_f32_dpp v209, v12, v209 row_newbcast:13 row_mask:0xf bank_mask:0xf// 000000007D04: 0BA3A2FA FF015D0C
	v_mul_f32_dpp v210, v12, v210 row_newbcast:14 row_mask:0xf bank_mask:0xf// 000000007D0C: 0BA5A4FA FF015E0C
	v_mul_f32_dpp v211, v12, v211 row_newbcast:15 row_mask:0xf bank_mask:0xf// 000000007D14: 0BA7A6FA FF015F0C
	v_mul_f32_e32 v208, v17, v208                              // 000000007D1C: 0BA1A111
	v_mul_f32_e32 v209, v17, v209                              // 000000007D20: 0BA3A311
	v_mul_f32_e32 v210, v17, v210                              // 000000007D24: 0BA5A511
	v_mul_f32_e32 v211, v17, v211                              // 000000007D28: 0BA7A711
	v_cvt_f32_i32_e32 v212, v212                               // 000000007D2C: 7FA80BD4
	v_cvt_f32_i32_e32 v213, v213                               // 000000007D30: 7FAA0BD5
	v_cvt_f32_i32_e32 v214, v214                               // 000000007D34: 7FAC0BD6
	v_cvt_f32_i32_e32 v215, v215                               // 000000007D38: 7FAE0BD7
	v_mul_f32_e32 v212, v23, v212                              // 000000007D3C: 0BA9A917
	v_mul_f32_e32 v213, v23, v213                              // 000000007D40: 0BABAB17
	v_mul_f32_e32 v214, v23, v214                              // 000000007D44: 0BADAD17
	v_mul_f32_e32 v215, v23, v215                              // 000000007D48: 0BAFAF17
	v_mul_f32_dpp v212, v12, v212 row_newbcast:12 row_mask:0xf bank_mask:0xf// 000000007D4C: 0BA9A8FA FF015C0C
	v_mul_f32_dpp v213, v12, v213 row_newbcast:13 row_mask:0xf bank_mask:0xf// 000000007D54: 0BABAAFA FF015D0C
	v_mul_f32_dpp v214, v12, v214 row_newbcast:14 row_mask:0xf bank_mask:0xf// 000000007D5C: 0BADACFA FF015E0C
	v_mul_f32_dpp v215, v12, v215 row_newbcast:15 row_mask:0xf bank_mask:0xf// 000000007D64: 0BAFAEFA FF015F0C
	v_mul_f32_e32 v212, v18, v212                              // 000000007D6C: 0BA9A912
	v_mul_f32_e32 v213, v18, v213                              // 000000007D70: 0BABAB12
	v_mul_f32_e32 v214, v18, v214                              // 000000007D74: 0BADAD12
	v_mul_f32_e32 v215, v18, v215                              // 000000007D78: 0BAFAF12
	v_cmp_u_f32_e64 s[48:49], v184, v184                       // 000000007D7C: D0480030 000371B8
	v_add3_u32 v39, v184, v42, 1                               // 000000007D84: D1FF0027 020655B8
	v_cndmask_b32_e64 v44, v39, v41, s[48:49]                  // 000000007D8C: D100002C 00C25327
	v_cmp_u_f32_e64 s[48:49], v185, v185                       // 000000007D94: D0480030 000373B9
	v_add3_u32 v39, v185, v42, 1                               // 000000007D9C: D1FF0027 020655B9
	v_cndmask_b32_e64 v45, v39, v41, s[48:49]                  // 000000007DA4: D100002D 00C25327
	v_perm_b32 v184, v45, v44, s52                             // 000000007DAC: D1ED00B8 00D2592D
	v_cmp_u_f32_e64 s[48:49], v186, v186                       // 000000007DB4: D0480030 000375BA
	v_add3_u32 v39, v186, v42, 1                               // 000000007DBC: D1FF0027 020655BA
	v_cndmask_b32_e64 v44, v39, v41, s[48:49]                  // 000000007DC4: D100002C 00C25327
	v_cmp_u_f32_e64 s[48:49], v187, v187                       // 000000007DCC: D0480030 000377BB
	v_add3_u32 v39, v187, v42, 1                               // 000000007DD4: D1FF0027 020655BB
	v_cndmask_b32_e64 v45, v39, v41, s[48:49]                  // 000000007DDC: D100002D 00C25327
	v_perm_b32 v185, v45, v44, s52                             // 000000007DE4: D1ED00B9 00D2592D
	v_cmp_u_f32_e64 s[48:49], v188, v188                       // 000000007DEC: D0480030 000379BC
	v_add3_u32 v39, v188, v42, 1                               // 000000007DF4: D1FF0027 020655BC
	v_cndmask_b32_e64 v44, v39, v41, s[48:49]                  // 000000007DFC: D100002C 00C25327
	v_cmp_u_f32_e64 s[48:49], v189, v189                       // 000000007E04: D0480030 00037BBD
	v_add3_u32 v39, v189, v42, 1                               // 000000007E0C: D1FF0027 020655BD
	v_cndmask_b32_e64 v45, v39, v41, s[48:49]                  // 000000007E14: D100002D 00C25327
	v_perm_b32 v186, v45, v44, s52                             // 000000007E1C: D1ED00BA 00D2592D
	v_cmp_u_f32_e64 s[48:49], v190, v190                       // 000000007E24: D0480030 00037DBE
	v_add3_u32 v39, v190, v42, 1                               // 000000007E2C: D1FF0027 020655BE
	v_cndmask_b32_e64 v44, v39, v41, s[48:49]                  // 000000007E34: D100002C 00C25327
	v_cmp_u_f32_e64 s[48:49], v191, v191                       // 000000007E3C: D0480030 00037FBF
	v_add3_u32 v39, v191, v42, 1                               // 000000007E44: D1FF0027 020655BF
	v_cndmask_b32_e64 v45, v39, v41, s[48:49]                  // 000000007E4C: D100002D 00C25327
	v_perm_b32 v187, v45, v44, s52                             // 000000007E54: D1ED00BB 00D2592D
	v_cmp_u_f32_e64 s[48:49], v192, v192                       // 000000007E5C: D0480030 000381C0
	v_add3_u32 v39, v192, v42, 1                               // 000000007E64: D1FF0027 020655C0
	v_cndmask_b32_e64 v44, v39, v41, s[48:49]                  // 000000007E6C: D100002C 00C25327
	v_cmp_u_f32_e64 s[48:49], v193, v193                       // 000000007E74: D0480030 000383C1
	v_add3_u32 v39, v193, v42, 1                               // 000000007E7C: D1FF0027 020655C1
	v_cndmask_b32_e64 v45, v39, v41, s[48:49]                  // 000000007E84: D100002D 00C25327
	v_perm_b32 v188, v45, v44, s52                             // 000000007E8C: D1ED00BC 00D2592D
	v_cmp_u_f32_e64 s[48:49], v194, v194                       // 000000007E94: D0480030 000385C2
	v_add3_u32 v39, v194, v42, 1                               // 000000007E9C: D1FF0027 020655C2
	v_cndmask_b32_e64 v44, v39, v41, s[48:49]                  // 000000007EA4: D100002C 00C25327
	v_cmp_u_f32_e64 s[48:49], v195, v195                       // 000000007EAC: D0480030 000387C3
	v_add3_u32 v39, v195, v42, 1                               // 000000007EB4: D1FF0027 020655C3
	v_cndmask_b32_e64 v45, v39, v41, s[48:49]                  // 000000007EBC: D100002D 00C25327
	v_perm_b32 v189, v45, v44, s52                             // 000000007EC4: D1ED00BD 00D2592D
	v_cmp_u_f32_e64 s[48:49], v196, v196                       // 000000007ECC: D0480030 000389C4
	v_add3_u32 v39, v196, v42, 1                               // 000000007ED4: D1FF0027 020655C4
	v_cndmask_b32_e64 v44, v39, v41, s[48:49]                  // 000000007EDC: D100002C 00C25327
	v_cmp_u_f32_e64 s[48:49], v197, v197                       // 000000007EE4: D0480030 00038BC5
	v_add3_u32 v39, v197, v42, 1                               // 000000007EEC: D1FF0027 020655C5
	v_cndmask_b32_e64 v45, v39, v41, s[48:49]                  // 000000007EF4: D100002D 00C25327
	v_perm_b32 v190, v45, v44, s52                             // 000000007EFC: D1ED00BE 00D2592D
	v_cmp_u_f32_e64 s[48:49], v198, v198                       // 000000007F04: D0480030 00038DC6
	v_add3_u32 v39, v198, v42, 1                               // 000000007F0C: D1FF0027 020655C6
	v_cndmask_b32_e64 v44, v39, v41, s[48:49]                  // 000000007F14: D100002C 00C25327
	v_cmp_u_f32_e64 s[48:49], v199, v199                       // 000000007F1C: D0480030 00038FC7
	v_add3_u32 v39, v199, v42, 1                               // 000000007F24: D1FF0027 020655C7
	v_cndmask_b32_e64 v45, v39, v41, s[48:49]                  // 000000007F2C: D100002D 00C25327
	v_perm_b32 v191, v45, v44, s52                             // 000000007F34: D1ED00BF 00D2592D
	v_cmp_u_f32_e64 s[48:49], v200, v200                       // 000000007F3C: D0480030 000391C8
	v_add3_u32 v39, v200, v42, 1                               // 000000007F44: D1FF0027 020655C8
	v_cndmask_b32_e64 v44, v39, v41, s[48:49]                  // 000000007F4C: D100002C 00C25327
	v_cmp_u_f32_e64 s[48:49], v201, v201                       // 000000007F54: D0480030 000393C9
	v_add3_u32 v39, v201, v42, 1                               // 000000007F5C: D1FF0027 020655C9
	v_cndmask_b32_e64 v45, v39, v41, s[48:49]                  // 000000007F64: D100002D 00C25327
	v_perm_b32 v192, v45, v44, s52                             // 000000007F6C: D1ED00C0 00D2592D
	v_cmp_u_f32_e64 s[48:49], v202, v202                       // 000000007F74: D0480030 000395CA
	v_add3_u32 v39, v202, v42, 1                               // 000000007F7C: D1FF0027 020655CA
	v_cndmask_b32_e64 v44, v39, v41, s[48:49]                  // 000000007F84: D100002C 00C25327
	v_cmp_u_f32_e64 s[48:49], v203, v203                       // 000000007F8C: D0480030 000397CB
	v_add3_u32 v39, v203, v42, 1                               // 000000007F94: D1FF0027 020655CB
	v_cndmask_b32_e64 v45, v39, v41, s[48:49]                  // 000000007F9C: D100002D 00C25327
	v_perm_b32 v193, v45, v44, s52                             // 000000007FA4: D1ED00C1 00D2592D
	v_cmp_u_f32_e64 s[48:49], v204, v204                       // 000000007FAC: D0480030 000399CC
	v_add3_u32 v39, v204, v42, 1                               // 000000007FB4: D1FF0027 020655CC
	v_cndmask_b32_e64 v44, v39, v41, s[48:49]                  // 000000007FBC: D100002C 00C25327
	v_cmp_u_f32_e64 s[48:49], v205, v205                       // 000000007FC4: D0480030 00039BCD
	v_add3_u32 v39, v205, v42, 1                               // 000000007FCC: D1FF0027 020655CD
	v_cndmask_b32_e64 v45, v39, v41, s[48:49]                  // 000000007FD4: D100002D 00C25327
	v_perm_b32 v194, v45, v44, s52                             // 000000007FDC: D1ED00C2 00D2592D
	v_cmp_u_f32_e64 s[48:49], v206, v206                       // 000000007FE4: D0480030 00039DCE
	v_add3_u32 v39, v206, v42, 1                               // 000000007FEC: D1FF0027 020655CE
	v_cndmask_b32_e64 v44, v39, v41, s[48:49]                  // 000000007FF4: D100002C 00C25327
	v_cmp_u_f32_e64 s[48:49], v207, v207                       // 000000007FFC: D0480030 00039FCF
	v_add3_u32 v39, v207, v42, 1                               // 000000008004: D1FF0027 020655CF
	v_cndmask_b32_e64 v45, v39, v41, s[48:49]                  // 00000000800C: D100002D 00C25327
	v_perm_b32 v195, v45, v44, s52                             // 000000008014: D1ED00C3 00D2592D
	v_cmp_u_f32_e64 s[48:49], v208, v208                       // 00000000801C: D0480030 0003A1D0
	v_add3_u32 v39, v208, v42, 1                               // 000000008024: D1FF0027 020655D0
	v_cndmask_b32_e64 v44, v39, v41, s[48:49]                  // 00000000802C: D100002C 00C25327
	v_cmp_u_f32_e64 s[48:49], v209, v209                       // 000000008034: D0480030 0003A3D1
	v_add3_u32 v39, v209, v42, 1                               // 00000000803C: D1FF0027 020655D1
	v_cndmask_b32_e64 v45, v39, v41, s[48:49]                  // 000000008044: D100002D 00C25327
	v_perm_b32 v196, v45, v44, s52                             // 00000000804C: D1ED00C4 00D2592D
	v_cmp_u_f32_e64 s[48:49], v210, v210                       // 000000008054: D0480030 0003A5D2
	v_add3_u32 v39, v210, v42, 1                               // 00000000805C: D1FF0027 020655D2
	v_cndmask_b32_e64 v44, v39, v41, s[48:49]                  // 000000008064: D100002C 00C25327
	v_cmp_u_f32_e64 s[48:49], v211, v211                       // 00000000806C: D0480030 0003A7D3
	v_add3_u32 v39, v211, v42, 1                               // 000000008074: D1FF0027 020655D3
	v_cndmask_b32_e64 v45, v39, v41, s[48:49]                  // 00000000807C: D100002D 00C25327
	v_perm_b32 v197, v45, v44, s52                             // 000000008084: D1ED00C5 00D2592D
	v_cmp_u_f32_e64 s[48:49], v212, v212                       // 00000000808C: D0480030 0003A9D4
	v_add3_u32 v39, v212, v42, 1                               // 000000008094: D1FF0027 020655D4
	v_cndmask_b32_e64 v44, v39, v41, s[48:49]                  // 00000000809C: D100002C 00C25327
	v_cmp_u_f32_e64 s[48:49], v213, v213                       // 0000000080A4: D0480030 0003ABD5
	v_add3_u32 v39, v213, v42, 1                               // 0000000080AC: D1FF0027 020655D5
	v_cndmask_b32_e64 v45, v39, v41, s[48:49]                  // 0000000080B4: D100002D 00C25327
	v_perm_b32 v198, v45, v44, s52                             // 0000000080BC: D1ED00C6 00D2592D
	v_cmp_u_f32_e64 s[48:49], v214, v214                       // 0000000080C4: D0480030 0003ADD6
	v_add3_u32 v39, v214, v42, 1                               // 0000000080CC: D1FF0027 020655D6
	v_cndmask_b32_e64 v44, v39, v41, s[48:49]                  // 0000000080D4: D100002C 00C25327
	v_cmp_u_f32_e64 s[48:49], v215, v215                       // 0000000080DC: D0480030 0003AFD7
	v_add3_u32 v39, v215, v42, 1                               // 0000000080E4: D1FF0027 020655D7
	v_cndmask_b32_e64 v45, v39, v41, s[48:49]                  // 0000000080EC: D100002D 00C25327
	v_perm_b32 v199, v45, v44, s52                             // 0000000080F4: D1ED00C7 00D2592D
	ds_write_b64 v3, v[184:185] offset:24832                   // 0000000080FC: D89A6100 0000B803
	ds_write_b64 v3, v[186:187] offset:33536                   // 000000008104: D89A8300 0000BA03
	ds_write_b64 v3, v[188:189] offset:27008                   // 00000000810C: D89A6980 0000BC03
	ds_write_b64 v3, v[190:191] offset:35712                   // 000000008114: D89A8B80 0000BE03
	ds_write_b64 v3, v[192:193] offset:29184                   // 00000000811C: D89A7200 0000C003
	ds_write_b64 v3, v[194:195] offset:37888                   // 000000008124: D89A9400 0000C203
	ds_write_b64 v3, v[196:197] offset:31360                   // 00000000812C: D89A7A80 0000C403
	ds_write_b64 v3, v[198:199] offset:40064                   // 000000008134: D89A9C80 0000C603
	s_waitcnt lgkmcnt(0)                                       // 00000000813C: BF8CC07F
	s_barrier                                                  // 000000008140: BF8A0000
	ds_read_b32 v64, v4 offset:24832                           // 000000008144: D86C6100 40000004
	ds_read_b32 v65, v4 offset:29184                           // 00000000814C: D86C7200 41000004
	ds_read_b32 v66, v4 offset:24864                           // 000000008154: D86C6120 42000004
	ds_read_b32 v67, v4 offset:29216                           // 00000000815C: D86C7220 43000004
	ds_read_b32 v68, v4 offset:24896                           // 000000008164: D86C6140 44000004
	ds_read_b32 v69, v4 offset:29248                           // 00000000816C: D86C7240 45000004
	ds_read_b32 v70, v4 offset:24928                           // 000000008174: D86C6160 46000004
	ds_read_b32 v71, v4 offset:29280                           // 00000000817C: D86C7260 47000004
	ds_read_b32 v72, v4 offset:33536                           // 000000008184: D86C8300 48000004
	ds_read_b32 v73, v4 offset:37888                           // 00000000818C: D86C9400 49000004
	ds_read_b32 v74, v4 offset:33568                           // 000000008194: D86C8320 4A000004
	ds_read_b32 v75, v4 offset:37920                           // 00000000819C: D86C9420 4B000004
	ds_read_b32 v76, v4 offset:33600                           // 0000000081A4: D86C8340 4C000004
	ds_read_b32 v77, v4 offset:37952                           // 0000000081AC: D86C9440 4D000004
	ds_read_b32 v78, v4 offset:33632                           // 0000000081B4: D86C8360 4E000004
	ds_read_b32 v79, v4 offset:37984                           // 0000000081BC: D86C9460 4F000004
	s_waitcnt lgkmcnt(0)                                       // 0000000081C4: BF8CC07F
	s_mov_b64 exec, s[20:21]                                   // 0000000081C8: BEFE0114
	global_atomic_pk_add_bf16 v80, v64, s[8:9]                 // 0000000081CC: DD488000 00084050
	s_mov_b64 exec, s[36:37]                                   // 0000000081D4: BEFE0124
	s_mov_b64 exec, s[20:21]                                   // 0000000081D8: BEFE0114
	global_atomic_pk_add_bf16 v80, v65, s[8:9] offset:256      // 0000000081DC: DD488100 00084150
	s_mov_b64 exec, s[36:37]                                   // 0000000081E4: BEFE0124
	s_mov_b64 exec, s[22:23]                                   // 0000000081E8: BEFE0116
	global_atomic_pk_add_bf16 v82, v66, s[8:9]                 // 0000000081EC: DD488000 00084252
	s_mov_b64 exec, s[36:37]                                   // 0000000081F4: BEFE0124
	s_mov_b64 exec, s[22:23]                                   // 0000000081F8: BEFE0116
	global_atomic_pk_add_bf16 v82, v67, s[8:9] offset:256      // 0000000081FC: DD488100 00084352
	s_mov_b64 exec, s[36:37]                                   // 000000008204: BEFE0124
	s_mov_b64 exec, s[24:25]                                   // 000000008208: BEFE0118
	global_atomic_pk_add_bf16 v84, v68, s[8:9]                 // 00000000820C: DD488000 00084454
	s_mov_b64 exec, s[36:37]                                   // 000000008214: BEFE0124
	s_mov_b64 exec, s[24:25]                                   // 000000008218: BEFE0118
	global_atomic_pk_add_bf16 v84, v69, s[8:9] offset:256      // 00000000821C: DD488100 00084554
	s_mov_b64 exec, s[36:37]                                   // 000000008224: BEFE0124
	s_mov_b64 exec, s[26:27]                                   // 000000008228: BEFE011A
	global_atomic_pk_add_bf16 v86, v70, s[8:9]                 // 00000000822C: DD488000 00084656
	s_mov_b64 exec, s[36:37]                                   // 000000008234: BEFE0124
	s_mov_b64 exec, s[26:27]                                   // 000000008238: BEFE011A
	global_atomic_pk_add_bf16 v86, v71, s[8:9] offset:256      // 00000000823C: DD488100 00084756
	s_mov_b64 exec, s[36:37]                                   // 000000008244: BEFE0124
	s_mov_b64 exec, s[28:29]                                   // 000000008248: BEFE011C
	global_atomic_pk_add_bf16 v88, v72, s[8:9]                 // 00000000824C: DD488000 00084858
	s_mov_b64 exec, s[36:37]                                   // 000000008254: BEFE0124
	s_mov_b64 exec, s[28:29]                                   // 000000008258: BEFE011C
	global_atomic_pk_add_bf16 v88, v73, s[8:9] offset:256      // 00000000825C: DD488100 00084958
	s_mov_b64 exec, s[36:37]                                   // 000000008264: BEFE0124
	s_mov_b64 exec, s[30:31]                                   // 000000008268: BEFE011E
	global_atomic_pk_add_bf16 v90, v74, s[8:9]                 // 00000000826C: DD488000 00084A5A
	s_mov_b64 exec, s[36:37]                                   // 000000008274: BEFE0124
	s_mov_b64 exec, s[30:31]                                   // 000000008278: BEFE011E
	global_atomic_pk_add_bf16 v90, v75, s[8:9] offset:256      // 00000000827C: DD488100 00084B5A
	s_mov_b64 exec, s[36:37]                                   // 000000008284: BEFE0124
	s_mov_b64 exec, s[32:33]                                   // 000000008288: BEFE0120
	global_atomic_pk_add_bf16 v92, v76, s[8:9]                 // 00000000828C: DD488000 00084C5C
	s_mov_b64 exec, s[36:37]                                   // 000000008294: BEFE0124
	s_mov_b64 exec, s[32:33]                                   // 000000008298: BEFE0120
	global_atomic_pk_add_bf16 v92, v77, s[8:9] offset:256      // 00000000829C: DD488100 00084D5C
	s_mov_b64 exec, s[36:37]                                   // 0000000082A4: BEFE0124
	s_mov_b64 exec, s[34:35]                                   // 0000000082A8: BEFE0122
	global_atomic_pk_add_bf16 v94, v78, s[8:9]                 // 0000000082AC: DD488000 00084E5E
	s_mov_b64 exec, s[36:37]                                   // 0000000082B4: BEFE0124
	s_mov_b64 exec, s[34:35]                                   // 0000000082B8: BEFE0122
	global_atomic_pk_add_bf16 v94, v79, s[8:9] offset:256      // 0000000082BC: DD488100 00084F5E
	s_mov_b64 exec, s[36:37]                                   // 0000000082C4: BEFE0124
	s_add_u32 s8, s59, s8                                      // 0000000082C8: 8008083B
	s_addc_u32 s9, 0, s9                                       // 0000000082CC: 82090980
	s_addk_i32 s80, 0x100                                      // 0000000082D0: B7500100
	s_cmp_lt_i32 s80, s81                                      // 0000000082D4: BF045150
	s_cbranch_scc0 label_0BEB                                  // 0000000082D8: BF84F6B4
	s_branch label_102F                                        // 0000000082DC: BF82FAF7

00000000000082e0 <label_1538>:
	s_waitcnt vmcnt(0) expcnt(0) lgkmcnt(0)                    // 0000000082E0: BF8C0000
	s_add_u32 s100, s100, 1                                    // 0000000082E4: 80648164
	s_cmp_eq_u32 s96, 0                                        // 0000000082E8: BF068060
	s_cbranch_scc0 label_0039                                  // 0000000082EC: BF84EAFD

00000000000082f0 <label_153C>:
	s_waitcnt vmcnt(0) expcnt(0) lgkmcnt(0)                    // 0000000082F0: BF8C0000
	s_endpgm                                                   // 0000000082F4: BF810000
